;; amdgpu-corpus repo=ROCm/aiter kind=harvested arch=n/a opt=n/a

/root/src/amdgpu-assembly/repos/ROCm__aiter/hsa/gfx950/pa/pa_bf16_pertokenInt8_gqa8_2tg_4w.co:	file format elf64-amdgpu

Disassembly of section .text:

0000000000002100 <_ZN5aiter32pa_bf16_pertokenInt8_gqa8_2tg_4wE>:
	s_and_b32 s1, s1, 0xffff                                   // 000000002100: 8601FF01 0000FFFF
	s_load_dwordx2 s[8:9], s[0:1], 0x0                         // 000000002108: C0060200 00000000
	s_load_dwordx2 s[12:13], s[0:1], 0x10                      // 000000002110: C0060300 00000010
	s_load_dwordx2 s[16:17], s[0:1], 0x20                      // 000000002118: C0060400 00000020
	s_load_dwordx2 s[20:21], s[0:1], 0x30                      // 000000002120: C0060500 00000030
	s_load_dwordx2 s[24:25], s[0:1], 0x40                      // 000000002128: C0060600 00000040
	s_load_dwordx2 s[28:29], s[0:1], 0x50                      // 000000002130: C0060700 00000050
	s_load_dwordx2 s[32:33], s[0:1], 0x60                      // 000000002138: C0060800 00000060
	s_load_dwordx2 s[36:37], s[0:1], 0x70                      // 000000002140: C0060900 00000070
	s_load_dword s64, s[0:1], 0x80                             // 000000002148: C0021000 00000080
	s_load_dword s65, s[0:1], 0x90                             // 000000002150: C0021040 00000090
	s_load_dword s66, s[0:1], 0xa0                             // 000000002158: C0021080 000000A0
	s_load_dword s74, s[0:1], 0xb0                             // 000000002160: C0021280 000000B0
	s_load_dword s68, s[0:1], 0xc0                             // 000000002168: C0021100 000000C0
	s_load_dword s69, s[0:1], 0xd0                             // 000000002170: C0021140 000000D0
	s_load_dword s77, s[0:1], 0xe0                             // 000000002178: C0021340 000000E0
	v_lshrrev_b32_e32 v1, 10, v0                               // 000000002180: 2002008A
	v_lshrrev_b32_e32 v2, 10, v1                               // 000000002184: 2004028A
	v_and_b32_e32 v2, 0x3ff, v2                                // 000000002188: 260404FF 000003FF
	v_and_b32_e32 v1, 0x3ff, v1                                // 000000002190: 260202FF 000003FF
	v_and_b32_e32 v0, 0x3ff, v0                                // 000000002198: 260000FF 000003FF
	v_lshrrev_b32_e32 v3, 6, v0                                // 0000000021A0: 20060086
	v_and_b32_e32 v0, 63, v0                                   // 0000000021A4: 260000BF
	s_mov_b32 s2, s2                                           // 0000000021A8: BE820002
	s_mov_b32 s3, s3                                           // 0000000021AC: BE830003
	s_mov_b32 s4, s4                                           // 0000000021B0: BE840004
	v_readfirstlane_b32 s7, v3                                 // 0000000021B4: 7E0E0503
	s_waitcnt lgkmcnt(0)                                       // 0000000021B8: BF8CC07F
	s_mul_i32 s67, 0x100, s77                                  // 0000000021BC: 92434DFF 00000100
	s_mul_i32 s76, 0x100, s77                                  // 0000000021C4: 924C4DFF 00000100
	s_mul_i32 s75, s66, s76                                    // 0000000021CC: 924B4C42
	s_mul_i32 s60, s3, 4                                       // 0000000021D0: 923C8403
	s_and_b32 s29, s29, 0xffff                                 // 0000000021D4: 861DFF1D 0000FFFF
	s_add_u32 s28, s60, s28                                    // 0000000021DC: 801C1C3C
	s_addc_u32 s29, 0, s29                                     // 0000000021E0: 821D1D80
	s_load_dword s72, s[28:29], 0x0                            // 0000000021E4: C002120E 00000000
	s_mov_b32 s10, s76                                         // 0000000021EC: BE8A004C
	s_mov_b32 s14, s67                                         // 0000000021F0: BE8E0043
	s_mul_i32 s60, 4, s65                                      // 0000000021F4: 923C4184
	s_mov_b32 s26, s60                                         // 0000000021F8: BE9A003C
	s_mov_b32 s34, 0x80000000                                  // 0000000021FC: BEA200FF 80000000
	s_mov_b32 s38, 0x80000000                                  // 000000002204: BEA600FF 80000000
	s_mov_b32 s18, 0x80000000                                  // 00000000220C: BE9200FF 80000000
	s_mov_b32 s22, 0x80000000                                  // 000000002214: BE9600FF 80000000
	s_mov_b32 s11, 0x20000                                     // 00000000221C: BE8B00FF 00020000
	s_mov_b32 s15, 0x20000                                     // 000000002224: BE8F00FF 00020000
	s_mov_b32 s19, 0x20000                                     // 00000000222C: BE9300FF 00020000
	s_mov_b32 s23, 0x20000                                     // 000000002234: BE9700FF 00020000
	s_mov_b32 s27, 0x20000                                     // 00000000223C: BE9B00FF 00020000
	s_mov_b32 s35, 0x20000                                     // 000000002244: BEA300FF 00020000
	s_mov_b32 s39, 0x20000                                     // 00000000224C: BEA700FF 00020000
	s_and_b32 s9, s9, 0xffff                                   // 000000002254: 8609FF09 0000FFFF
	s_and_b32 s13, s13, 0xffff                                 // 00000000225C: 860DFF0D 0000FFFF
	s_and_b32 s17, s17, 0xffff                                 // 000000002264: 8611FF11 0000FFFF
	s_and_b32 s21, s21, 0xffff                                 // 00000000226C: 8615FF15 0000FFFF
	s_and_b32 s25, s25, 0xffff                                 // 000000002274: 8619FF19 0000FFFF
	s_and_b32 s33, s33, 0xffff                                 // 00000000227C: 8621FF21 0000FFFF
	s_and_b32 s37, s37, 0xffff                                 // 000000002284: 8625FF25 0000FFFF
	s_or_b32 s9, s9, 0x40000                                   // 00000000228C: 8709FF09 00040000
	s_or_b32 s13, s13, 0x40000                                 // 000000002294: 870DFF0D 00040000
	s_or_b32 s17, s17, 0x40000                                 // 00000000229C: 8711FF11 00040000
	s_or_b32 s21, s21, 0x40000                                 // 0000000022A4: 8715FF15 00040000
	s_or_b32 s25, s25, 0x40000                                 // 0000000022AC: 8719FF19 00040000
	s_or_b32 s33, s33, 0x40000                                 // 0000000022B4: 8721FF21 00040000
	s_or_b32 s37, s37, 0x40000                                 // 0000000022BC: 8725FF25 00040000
	v_accvgpr_write_b32 a127, 0                                // 0000000022C4: D3D9407F 18000080
	v_mov_b32_e32 v127, 0                                      // 0000000022CC: 7EFE0280
	s_mul_i32 s60, s3, s65                                     // 0000000022D0: 923C4103
	s_mul_i32 s60, s60, 4                                      // 0000000022D4: 923C843C
	s_add_u32 s24, s60, s24                                    // 0000000022D8: 8018183C
	s_addc_u32 s25, 0, s25                                     // 0000000022DC: 82191980
	s_mov_b32 s56, 64                                          // 0000000022E0: BEB800C0
	s_waitcnt lgkmcnt(0)                                       // 0000000022E4: BF8CC07F
	s_add_u32 s73, s72, 15                                     // 0000000022E8: 80498F48
	s_lshr_b32 s73, s73, 4                                     // 0000000022EC: 8F498449
	s_mul_i32 s60, s73, 4                                      // 0000000022F0: 923C8449
	s_mov_b32 s26, s60                                         // 0000000022F4: BE9A003C
	v_and_b32_e32 v39, 3, v0                                   // 0000000022F8: 264E0083
	v_cmp_eq_u32_e64 s[60:61], 0, v39                          // 0000000022FC: D0CA003C 00024E80
	v_and_b32_e32 v38, 12, v0                                  // 000000002304: 264C008C
	v_add_u32_e32 v1, s7, v38                                  // 000000002308: 68024C07
	v_cndmask_b32_e64 v1, 0, v1, s[60:61]                      // 00000000230C: D1000001 00F20280
	v_and_b32_e32 v39, 3, v0                                   // 000000002314: 264E0083
	v_cmp_eq_u32_e64 s[60:61], 1, v39                          // 000000002318: D0CA003C 00024E81
	v_lshrrev_b32_e32 v38, 4, v0                               // 000000002320: 204C0084
	v_and_b32_e32 v39, 12, v0                                  // 000000002324: 264E008C
	v_add_u32_e32 v38, v39, v38                                // 000000002328: 684C4D27
	v_cndmask_b32_e64 v38, 0, v38, s[60:61]                    // 00000000232C: D1000026 00F24C80
	v_add_u32_e32 v1, v1, v38                                  // 000000002334: 68024D01
	v_lshlrev_b32_e32 v1, 2, v1                                // 000000002338: 24020282
	buffer_load_dword v16, v1, s[24:27], 0 offen               // 00000000233C: E0501000 80061001
	v_add_u32_e32 v1, s56, v1                                  // 000000002344: 68020238
	buffer_load_dword v17, v1, s[24:27], 0 offen               // 000000002348: E0501000 80061101
	s_cmp_le_u32 s73, 32                                       // 000000002350: BF0BA049
	s_cselect_b32 s56, 0, s56                                  // 000000002354: 85383880
	s_mul_i32 s60, s2, s67                                     // 000000002358: 923C4302
	s_mul_i32 s61, s3, s74                                     // 00000000235C: 923D4A03
	s_add_u32 s60, s60, s61                                    // 000000002360: 803C3D3C
	s_add_u32 s12, s60, s12                                    // 000000002364: 800C0C3C
	s_addc_u32 s13, 0, s13                                     // 000000002368: 820D0D80
	s_mul_i32 s60, s7, 0x108                                   // 00000000236C: 923CFF07 00000108
	s_add_u32 m0, 0, s60                                       // 000000002374: 807C3C80
	s_mul_i32 s60, s7, 0x100                                   // 000000002378: 923CFF07 00000100
	v_lshlrev_b32_e32 v38, 2, v0                               // 000000002380: 244C0082
	v_add_u32_e64 v38, v38, s60                                // 000000002384: D1340026 00007926
	buffer_load_dword v38, s[12:15], 0 offen lds               // 00000000238C: E0511000 80030026
	s_mul_i32 s60, 4, 0x108                                    // 000000002394: 923CFF84 00000108
	s_add_u32 m0, m0, s60                                      // 00000000239C: 807C3C7C
	v_add_u32_e32 v38, 0x400, v38                              // 0000000023A0: 684C4CFF 00000400
	buffer_load_dword v38, s[12:15], 0 offen lds               // 0000000023A8: E0511000 80030026
	s_mul_i32 s60, 4, 0x108                                    // 0000000023B0: 923CFF84 00000108
	s_add_u32 m0, m0, s60                                      // 0000000023B8: 807C3C7C
	v_add_u32_e32 v38, 0x400, v38                              // 0000000023BC: 684C4CFF 00000400
	s_mul_i32 s60, s7, 0x108                                   // 0000000023C4: 923CFF07 00000108
	v_lshlrev_b32_e32 v38, 2, v0                               // 0000000023CC: 244C0082
	v_add_u32_e64 v38, v38, s60                                // 0000000023D0: D1340026 00007926
	v_mov_b32_e32 v39, 0                                       // 0000000023D8: 7E4E0280
	ds_write_b32 v38, v39 offset:2112                          // 0000000023DC: D81A0840 00002726
	ds_write_b32 v38, v39 offset:3168                          // 0000000023E4: D81A0C60 00002726
	v_lshrrev_b32_e32 v38, 4, v0                               // 0000000023EC: 204C0084
	v_lshlrev_b32_e32 v38, 2, v38                              // 0000000023F0: 244C4C82
	v_and_b32_e32 v39, 3, v0                                   // 0000000023F4: 264E0083
	v_add_u32_e32 v38, v39, v38                                // 0000000023F8: 684C4D27
	v_lshlrev_b32_e32 v57, 2, v38                              // 0000000023FC: 24724C82
	v_mov_b32_e32 v58, v57                                     // 000000002400: 7E740339
	s_mul_i32 s60, s2, 64                                      // 000000002404: 923CC002
	s_add_u32 s32, s60, s32                                    // 000000002408: 8020203C
	s_addc_u32 s33, 0, s33                                     // 00000000240C: 82212180
	s_add_u32 s36, s60, s36                                    // 000000002410: 8024243C
	s_addc_u32 s37, 0, s37                                     // 000000002414: 82252580
	s_mul_i32 s60, s2, s76                                     // 000000002418: 923C4C02
	s_mul_i32 s61, s3, s75                                     // 00000000241C: 923D4B03
	s_add_u32 s60, s60, s61                                    // 000000002420: 803C3D3C
	s_add_u32 s8, s60, s8                                      // 000000002424: 8008083C
	s_addc_u32 s9, 0, s9                                       // 000000002428: 82090980
	s_mul_i32 s60, s7, 0x100                                   // 00000000242C: 923CFF07 00000100
	v_lshlrev_b32_e32 v8, 2, v0                                // 000000002434: 24100082
	v_add_u32_e64 v8, v8, s60                                  // 000000002438: D1340008 00007908
	s_mov_b32 s70, 0                                           // 000000002440: BEC60080
	s_and_b32 s71, s72, 0xffffff00                             // 000000002444: 8647FF48 FFFFFF00
	s_mov_b32 s42, 0xff00ff00                                  // 00000000244C: BEAA00FF FF00FF00
	s_mov_b32 s43, 0xff00ff00                                  // 000000002454: BEAB00FF FF00FF00
	s_mov_b32 s44, 0xf0f0f0f0                                  // 00000000245C: BEAC00FF F0F0F0F0
	s_mov_b32 s45, 0xf0f0f0f0                                  // 000000002464: BEAD00FF F0F0F0F0
	v_mul_i32_i24_e64 v61, 64, s66                             // 00000000246C: D106003D 000084C0
	v_mov_b32_e32 v51, s68                                     // 000000002474: 7E660244
	v_mov_b32_e32 v9, -1                                       // 000000002478: 7E1202C1
	s_mov_b32 s52, 0x7060302                                   // 00000000247C: BEB400FF 07060302
	s_mov_b32 s53, 0x400                                       // 000000002484: BEB500FF 00000400
	s_mov_b32 s54, 0x40100                                     // 00000000248C: BEB600FF 00040100
	s_mov_b32 s55, 0x4020100                                   // 000000002494: BEB700FF 04020100
	v_mov_b32_dpp v9, v9 row_shl:8 row_mask:0xf bank_mask:0xf bound_ctrl:1// 00000000249C: 7E1202FA FF090809
	s_mov_b32 s6, 0x3fb8aa3b                                   // 0000000024A4: BE8600FF 3FB8AA3B
	v_mov_b32_e32 v14, 0xff800000                              // 0000000024AC: 7E1C02FF FF800000
	v_mov_b32_e32 v52, 0xff800000                              // 0000000024B4: 7E6802FF FF800000
	v_mov_b32_e32 v49, 0                                       // 0000000024BC: 7E620280
	v_mov_b32_e32 v42, 0                                       // 0000000024C0: 7E540280
	v_mov_b32_e32 v47, 0                                       // 0000000024C4: 7E5E0280
	v_mov_b32_e32 v19, 0xffff0000                              // 0000000024C8: 7E2602FF FFFF0000
	v_mov_b32_e32 v20, 0x7fff0000                              // 0000000024D0: 7E2802FF 7FFF0000
	v_mov_b32_e32 v21, 0x7fff                                  // 0000000024D8: 7E2A02FF 00007FFF
	v_add_u32_e32 v1, s56, v1                                  // 0000000024E0: 68020238
	v_and_b32_e32 v10, 15, v0                                  // 0000000024E4: 2614008F
	v_lshlrev_b32_e32 v10, 2, v10                              // 0000000024E8: 24141482
	v_lshlrev_b32_e32 v11, 2, v0                               // 0000000024EC: 24160082
	s_mul_i32 s60, 0x100, s7                                   // 0000000024F0: 923C07FF 00000100
	v_add_u32_e32 v11, s60, v11                                // 0000000024F8: 6816163C
	v_lshrrev_b32_e32 v38, 4, v0                               // 0000000024FC: 204C0084
	v_lshlrev_b32_e32 v39, 6, v38                              // 000000002500: 244E4C86
	v_and_b32_e32 v38, 15, v0                                  // 000000002504: 264C008F
	v_lshlrev_b32_e32 v38, 1, v38                              // 000000002508: 244C4C81
	v_add_u32_e32 v39, v38, v39                                // 00000000250C: 684E4F26
	v_lshlrev_b32_e32 v12, 2, v39                              // 000000002510: 24184E82
	v_lshrrev_b32_e32 v38, 5, v0                               // 000000002514: 204C0085
	v_lshlrev_b32_e32 v39, 5, v38                              // 000000002518: 244E4C85
	v_and_b32_e32 v38, 31, v0                                  // 00000000251C: 264C009F
	v_lshrrev_b32_e32 v40, 4, v38                              // 000000002520: 20504C84
	v_add_u32_e32 v39, v40, v39                                // 000000002524: 684E4F28
	v_and_b32_e32 v38, 15, v0                                  // 000000002528: 264C008F
	v_lshlrev_b32_e32 v38, 1, v38                              // 00000000252C: 244C4C81
	v_add_u32_e32 v39, v38, v39                                // 000000002530: 684E4F26
	v_lshlrev_b32_e32 v38, 2, v39                              // 000000002534: 244C4E82
	s_mul_i32 s60, 0x100, s7                                   // 000000002538: 923C07FF 00000100
	v_add_u32_e64 v13, v38, s60                                // 000000002540: D134000D 00007926
	v_lshlrev_b32_e32 v6, 4, v0                                // 000000002548: 240C0084
	s_mul_i32 s60, s2, s69                                     // 00000000254C: 923C4502
	s_add_u32 s16, s60, s16                                    // 000000002550: 8010103C
	s_addc_u32 s17, 0, s17                                     // 000000002554: 82111180
	v_and_b32_e32 v38, 15, v0                                  // 000000002558: 264C008F
	v_lshlrev_b32_e32 v7, 4, v38                               // 00000000255C: 240E4C84
	s_mul_i32 s61, s2, s69                                     // 000000002560: 923D4502
	s_mul_i32 s60, s7, 0x100                                   // 000000002564: 923CFF07 00000100
	s_add_u32 s60, s60, s61                                    // 00000000256C: 803C3D3C
	s_add_u32 s20, s60, s20                                    // 000000002570: 8014143C
	s_addc_u32 s21, 0, s21                                     // 000000002574: 82151580
	s_waitcnt vmcnt(2)                                         // 000000002578: BF8C0F72
	v_mul_u32_u24_dpp v38, v16, v51 row_newbcast:0 row_mask:0xf bank_mask:0xf// 00000000257C: 104C66FA FF015010
	v_mul_u32_u24_dpp v39, v16, v51 row_newbcast:4 row_mask:0xf bank_mask:0xf// 000000002584: 104E66FA FF015410
	v_mul_u32_u24_dpp v40, v16, v51 row_newbcast:8 row_mask:0xf bank_mask:0xf// 00000000258C: 105066FA FF015810
	v_mul_u32_u24_dpp v41, v16, v51 row_newbcast:12 row_mask:0xf bank_mask:0xf// 000000002594: 105266FA FF015C10
	v_add_u32_e32 v22, v38, v6                                 // 00000000259C: 682C0D26
	v_add_u32_e32 v23, v39, v6                                 // 0000000025A0: 682E0D27
	v_add_u32_e32 v24, v40, v6                                 // 0000000025A4: 68300D28
	v_add_u32_e32 v25, v41, v6                                 // 0000000025A8: 68320D29
	v_mul_u32_u24_dpp v38, v16, v51 row_newbcast:1 row_mask:0xf bank_mask:0xf// 0000000025AC: 104C66FA FF015110
	v_mul_u32_u24_dpp v39, v16, v51 row_newbcast:5 row_mask:0xf bank_mask:0xf// 0000000025B4: 104E66FA FF015510
	v_mul_u32_u24_dpp v40, v16, v51 row_newbcast:9 row_mask:0xf bank_mask:0xf// 0000000025BC: 105066FA FF015910
	v_mul_u32_u24_dpp v41, v16, v51 row_newbcast:13 row_mask:0xf bank_mask:0xf// 0000000025C4: 105266FA FF015D10
	v_add_u32_e32 v30, v38, v7                                 // 0000000025CC: 683C0F26
	v_add_u32_e32 v31, v39, v7                                 // 0000000025D0: 683E0F27
	v_add_u32_e32 v32, v40, v7                                 // 0000000025D4: 68400F28
	v_add_u32_e32 v33, v41, v7                                 // 0000000025D8: 68420F29
	v_mul_u32_u24_dpp v38, v16, v61 quad_perm:[0,0,0,0] row_mask:0xf bank_mask:0xf// 0000000025DC: 104C7AFA FF000010
	v_add_u32_e32 v2, v38, v57                                 // 0000000025E4: 68047326
	v_mul_u32_u24_dpp v38, v16, v61 quad_perm:[0,0,0,0] row_mask:0xf bank_mask:0xf// 0000000025E8: 104C7AFA FF000010
	v_add_u32_e32 v53, v38, v58                                // 0000000025F0: 686A7526
	buffer_load_dword v44, v2, s[32:35], 0 offen               // 0000000025F4: E0501000 80082C02
	buffer_load_dwordx4 a[0:3], v22, s[16:19], 0 offen         // 0000000025FC: E05C1000 80840016
	buffer_load_dwordx4 a[4:7], v22, s[16:19], 0 offen offset:1024// 000000002604: E05C1400 80840416
	buffer_load_dwordx4 a[8:11], v23, s[16:19], 0 offen        // 00000000260C: E05C1000 80840817
	buffer_load_dwordx4 a[12:15], v23, s[16:19], 0 offen offset:1024// 000000002614: E05C1400 80840C17
	buffer_load_dwordx4 a[16:19], v24, s[16:19], 0 offen       // 00000000261C: E05C1000 80841018
	buffer_load_dwordx4 a[20:23], v24, s[16:19], 0 offen offset:1024// 000000002624: E05C1400 80841418
	buffer_load_dwordx4 a[24:27], v25, s[16:19], 0 offen       // 00000000262C: E05C1000 80841819
	buffer_load_dwordx4 a[28:31], v25, s[16:19], 0 offen offset:1024// 000000002634: E05C1400 80841C19
	buffer_load_dword v55, v53, s[36:39], 0 offen              // 00000000263C: E0501000 80093735
	buffer_load_dwordx4 a[64:67], v30, s[20:23], 0 offen       // 000000002644: E05C1000 8085401E
	buffer_load_dwordx4 a[68:71], v31, s[20:23], 0 offen       // 00000000264C: E05C1000 8085441F
	buffer_load_dwordx4 a[72:75], v32, s[20:23], 0 offen       // 000000002654: E05C1000 80854820
	buffer_load_dwordx4 a[76:79], v33, s[20:23], 0 offen       // 00000000265C: E05C1000 80854C21
	buffer_load_dwordx4 a[80:83], v30, s[20:23], 0 offen offset:1024// 000000002664: E05C1400 8085501E
	buffer_load_dwordx4 a[84:87], v31, s[20:23], 0 offen offset:1024// 00000000266C: E05C1400 8085541F
	buffer_load_dwordx4 a[88:91], v32, s[20:23], 0 offen offset:1024// 000000002674: E05C1400 80855820
	buffer_load_dwordx4 a[92:95], v33, s[20:23], 0 offen offset:1024// 00000000267C: E05C1400 80855C21
	v_lshrrev_b32_e32 v38, 4, v0                               // 000000002684: 204C0084
	v_lshlrev_b32_e32 v39, 1, v38                              // 000000002688: 244E4C81
	v_and_b32_e32 v38, 15, v0                                  // 00000000268C: 264C008F
	v_mul_i32_i24_e32 v38, 0x42, v38                           // 000000002690: 0C4C4CFF 00000042
	v_add_u32_e32 v39, v38, v39                                // 000000002698: 684E4F26
	v_lshlrev_b32_e32 v4, 2, v39                               // 00000000269C: 24084E82
	s_mul_i32 s60, s7, 32                                      // 0000000026A0: 923CA007
	v_add_u32_e32 v4, s60, v4                                  // 0000000026A4: 6808083C
	s_waitcnt vmcnt(16) lgkmcnt(0)                             // 0000000026A8: BF8C4070
	s_barrier                                                  // 0000000026AC: BF8A0000
	ds_read_b64 v[80:81], v4                                   // 0000000026B0: D8EC0000 50000004
	ds_read_b64 v[84:85], v4 offset:128                        // 0000000026B8: D8EC0080 54000004
	s_waitcnt lgkmcnt(0)                                       // 0000000026C0: BF8CC07F
	v_and_b32_e32 v83, 0xffff0000, v81                         // 0000000026C4: 26A6A2FF FFFF0000
	v_lshlrev_b32_e32 v82, 16, v81                             // 0000000026CC: 24A4A290
	v_and_b32_e32 v81, 0xffff0000, v80                         // 0000000026D0: 26A2A0FF FFFF0000
	v_lshlrev_b32_e32 v80, 16, v80                             // 0000000026D8: 24A0A090
	v_and_b32_e32 v87, 0xffff0000, v85                         // 0000000026DC: 26AEAAFF FFFF0000
	v_lshlrev_b32_e32 v86, 16, v85                             // 0000000026E4: 24ACAA90
	v_and_b32_e32 v85, 0xffff0000, v84                         // 0000000026E8: 26AAA8FF FFFF0000
	v_lshlrev_b32_e32 v84, 16, v84                             // 0000000026F0: 24A8A890
	v_mov_b32_e32 v48, 0x358637bd                              // 0000000026F4: 7E6002FF 358637BD
	v_max3_f32 v48, |v80|, |v81|, v48                          // 0000000026FC: D1D30330 04C2A350
	v_max3_f32 v48, |v82|, |v83|, v48                          // 000000002704: D1D30330 04C2A752
	v_max3_f32 v48, |v84|, |v85|, v48                          // 00000000270C: D1D30330 04C2AB54
	v_max3_f32 v48, |v86|, |v87|, v48                          // 000000002714: D1D30330 04C2AF56
	ds_write_b32 v11, v48 offset:4224                          // 00000000271C: D81A1080 0000300B
	s_waitcnt lgkmcnt(0)                                       // 000000002724: BF8CC07F
	s_barrier                                                  // 000000002728: BF8A0000
	ds_read_b32 v64, v10 offset:4224                           // 00000000272C: D86C1080 4000000A
	ds_read_b32 v65, v10 offset:4288                           // 000000002734: D86C10C0 4100000A
	ds_read_b32 v66, v10 offset:4352                           // 00000000273C: D86C1100 4200000A
	ds_read_b32 v67, v10 offset:4416                           // 000000002744: D86C1140 4300000A
	ds_read_b32 v68, v10 offset:4480                           // 00000000274C: D86C1180 4400000A
	ds_read_b32 v69, v10 offset:4544                           // 000000002754: D86C11C0 4500000A
	ds_read_b32 v70, v10 offset:4608                           // 00000000275C: D86C1200 4600000A
	ds_read_b32 v71, v10 offset:4672                           // 000000002764: D86C1240 4700000A
	ds_read_b32 v72, v10 offset:4736                           // 00000000276C: D86C1280 4800000A
	ds_read_b32 v73, v10 offset:4800                           // 000000002774: D86C12C0 4900000A
	ds_read_b32 v74, v10 offset:4864                           // 00000000277C: D86C1300 4A00000A
	ds_read_b32 v75, v10 offset:4928                           // 000000002784: D86C1340 4B00000A
	ds_read_b32 v76, v10 offset:4992                           // 00000000278C: D86C1380 4C00000A
	ds_read_b32 v77, v10 offset:5056                           // 000000002794: D86C13C0 4D00000A
	ds_read_b32 v78, v10 offset:5120                           // 00000000279C: D86C1400 4E00000A
	ds_read_b32 v79, v10 offset:5184                           // 0000000027A4: D86C1440 4F00000A
	s_waitcnt lgkmcnt(0)                                       // 0000000027AC: BF8CC07F
	v_max3_f32 v48, |v64|, |v65|, v48                          // 0000000027B0: D1D30330 04C28340
	v_max3_f32 v48, |v66|, |v67|, v48                          // 0000000027B8: D1D30330 04C28742
	v_max3_f32 v48, |v68|, |v69|, v48                          // 0000000027C0: D1D30330 04C28B44
	v_max3_f32 v48, |v70|, |v71|, v48                          // 0000000027C8: D1D30330 04C28F46
	v_max3_f32 v48, |v72|, |v73|, v48                          // 0000000027D0: D1D30330 04C29348
	v_max3_f32 v48, |v74|, |v75|, v48                          // 0000000027D8: D1D30330 04C2974A
	v_max3_f32 v48, |v76|, |v77|, v48                          // 0000000027E0: D1D30330 04C29B4C
	v_max3_f32 v48, |v78|, |v79|, v48                          // 0000000027E8: D1D30330 04C29F4E
	v_rcp_f32_e32 v48, v48                                     // 0000000027F0: 7E604530
	s_nop 1                                                    // 0000000027F4: BF800001
	v_mul_f32_e32 v48, 0x42fe0000, v48                         // 0000000027F8: 0A6060FF 42FE0000
	v_mul_f32_e32 v80, v48, v80                                // 000000002800: 0AA0A130
	v_mul_f32_e32 v81, v48, v81                                // 000000002804: 0AA2A330
	v_mul_f32_e32 v82, v48, v82                                // 000000002808: 0AA4A530
	v_mul_f32_e32 v83, v48, v83                                // 00000000280C: 0AA6A730
	v_mul_f32_e32 v84, v48, v84                                // 000000002810: 0AA8A930
	v_mul_f32_e32 v85, v48, v85                                // 000000002814: 0AAAAB30
	v_mul_f32_e32 v86, v48, v86                                // 000000002818: 0AACAD30
	v_mul_f32_e32 v87, v48, v87                                // 00000000281C: 0AAEAF30
	v_cvt_i32_f32_e32 v80, v80                                 // 000000002820: 7EA01150
	v_cvt_i32_f32_e32 v81, v81                                 // 000000002824: 7EA21151
	v_cvt_i32_f32_e32 v82, v82                                 // 000000002828: 7EA41152
	v_cvt_i32_f32_e32 v83, v83                                 // 00000000282C: 7EA61153
	v_cvt_i32_f32_e32 v84, v84                                 // 000000002830: 7EA81154
	v_cvt_i32_f32_e32 v85, v85                                 // 000000002834: 7EAA1155
	v_cvt_i32_f32_e32 v86, v86                                 // 000000002838: 7EAC1156
	v_cvt_i32_f32_e32 v87, v87                                 // 00000000283C: 7EAE1157
	v_rcp_f32_e32 v46, v48                                     // 000000002840: 7E5C4530
	v_perm_b32 v80, v81, v80, s53                              // 000000002844: D1ED0050 00D6A151
	v_perm_b32 v80, v82, v80, s54                              // 00000000284C: D1ED0050 00DAA152
	v_perm_b32 v80, v83, v80, s55                              // 000000002854: D1ED0050 00DEA153
	v_perm_b32 v81, v85, v84, s53                              // 00000000285C: D1ED0051 00D6A955
	v_perm_b32 v81, v86, v81, s54                              // 000000002864: D1ED0051 00DAA356
	v_perm_b32 v81, v87, v81, s55                              // 00000000286C: D1ED0051 00DEA357
	ds_write_b32 v13, v80 offset:6272                          // 000000002874: D81A1880 0000500D
	ds_write_b32 v13, v81 offset:7296                          // 00000000287C: D81A1C80 0000510D
	s_waitcnt lgkmcnt(0)                                       // 000000002884: BF8CC07F
	s_barrier                                                  // 000000002888: BF8A0000
	v_and_b32_e32 v46, v9, v46                                 // 00000000288C: 265C5D09
	ds_read_b64 v[80:81], v12 offset:6272                      // 000000002890: D8EC1880 5000000C
	ds_read_b64 v[82:83], v12 offset:6400                      // 000000002898: D8EC1900 5200000C
	ds_read_b64 v[84:85], v12 offset:7296                      // 0000000028A0: D8EC1C80 5400000C
	ds_read_b64 v[86:87], v12 offset:7424                      // 0000000028A8: D8EC1D00 5600000C
	v_mov_b32_e32 v112, 0                                      // 0000000028B0: 7EE00280
	v_mov_b32_e32 v113, 0                                      // 0000000028B4: 7EE20280
	v_mov_b32_e32 v114, 0                                      // 0000000028B8: 7EE40280
	v_mov_b32_e32 v115, 0                                      // 0000000028BC: 7EE60280
	v_mov_b32_e32 v104, 0                                      // 0000000028C0: 7ED00280
	v_mov_b32_e32 v105, 0                                      // 0000000028C4: 7ED20280
	v_mov_b32_e32 v106, 0                                      // 0000000028C8: 7ED40280
	v_mov_b32_e32 v107, 0                                      // 0000000028CC: 7ED60280
	v_mov_b32_e32 v108, 0                                      // 0000000028D0: 7ED80280
	v_mov_b32_e32 v109, 0                                      // 0000000028D4: 7EDA0280
	v_mov_b32_e32 v110, 0                                      // 0000000028D8: 7EDC0280
	v_mov_b32_e32 v111, 0                                      // 0000000028DC: 7EDE0280
	v_or_b32_dpp v46, v46, v46 row_shr:8 row_mask:0xf bank_mask:0xf bound_ctrl:1// 0000000028E0: 285C5CFA FF09182E
	s_waitcnt vmcnt(8) lgkmcnt(0)                              // 0000000028E8: BF8C0078
	s_barrier                                                  // 0000000028EC: BF8A0000
	s_cmp_lt_u32 s73, 16                                       // 0000000028F0: BF0A9049
	s_cbranch_scc1 label_09CD                                  // 0000000028F4: BF8507CF
	s_cmp_lt_i32 s7, 2                                         // 0000000028F8: BF048207
	s_cbranch_scc0 label_05E8                                  // 0000000028FC: BF8403E8

0000000000002900 <label_0200>:
	s_waitcnt vmcnt(8) lgkmcnt(0)                              // 000000002900: BF8C0078
	v_mul_u32_u24_dpp v38, v17, v51 row_newbcast:0 row_mask:0xf bank_mask:0xf// 000000002904: 104C66FA FF015011
	v_mul_u32_u24_dpp v39, v17, v51 row_newbcast:4 row_mask:0xf bank_mask:0xf// 00000000290C: 104E66FA FF015411
	v_mul_u32_u24_dpp v40, v17, v51 row_newbcast:8 row_mask:0xf bank_mask:0xf// 000000002914: 105066FA FF015811
	v_mul_u32_u24_dpp v41, v17, v51 row_newbcast:12 row_mask:0xf bank_mask:0xf// 00000000291C: 105266FA FF015C11
	v_add_u32_e32 v26, v38, v6                                 // 000000002924: 68340D26
	v_add_u32_e32 v27, v39, v6                                 // 000000002928: 68360D27
	v_add_u32_e32 v28, v40, v6                                 // 00000000292C: 68380D28
	v_add_u32_e32 v29, v41, v6                                 // 000000002930: 683A0D29
	v_mul_u32_u24_dpp v38, v17, v61 quad_perm:[0,0,0,0] row_mask:0xf bank_mask:0xf// 000000002934: 104C7AFA FF000011
	v_add_u32_e32 v3, v38, v57                                 // 00000000293C: 68067326
	v_mul_u32_u24_dpp v38, v17, v61 quad_perm:[0,0,0,0] row_mask:0xf bank_mask:0xf// 000000002940: 104C7AFA FF000011
	v_add_u32_e32 v54, v38, v58                                // 000000002948: 686C7526
	v_mfma_i32_16x16x32_i8 v[88:91], a[0:1], v[80:81], 0       // 00000000294C: D3D70058 0A02A100
	v_mfma_i32_16x16x32_i8 v[88:91], a[2:3], v[82:83], v[88:91]// 000000002954: D3D70058 0D62A502
	buffer_load_dwordx4 a[32:35], v26, s[16:19], 0 offen       // 00000000295C: E05C1000 8084201A
	v_mfma_i32_16x16x32_i8 v[88:91], a[4:5], v[84:85], v[88:91]// 000000002964: D3D70058 0D62A904
	v_mfma_i32_16x16x32_i8 v[88:91], a[6:7], v[86:87], v[88:91]// 00000000296C: D3D70058 0D62AD06
	buffer_load_dword v16, v1, s[24:27], 0 offen               // 000000002974: E0501000 80061001
	v_mfma_i32_16x16x32_i8 v[92:95], a[8:9], v[80:81], 0       // 00000000297C: D3D7005C 0A02A108
	v_mfma_i32_16x16x32_i8 v[92:95], a[10:11], v[82:83], v[92:95]// 000000002984: D3D7005C 0D72A50A
	buffer_load_dwordx4 a[36:39], v26, s[16:19], 0 offen offset:1024// 00000000298C: E05C1400 8084241A
	v_mfma_i32_16x16x32_i8 v[92:95], a[12:13], v[84:85], v[92:95]// 000000002994: D3D7005C 0D72A90C
	v_mfma_i32_16x16x32_i8 v[92:95], a[14:15], v[86:87], v[92:95]// 00000000299C: D3D7005C 0D72AD0E
	v_mfma_i32_16x16x32_i8 v[96:99], a[16:17], v[80:81], 0     // 0000000029A4: D3D70060 0A02A110
	v_mfma_i32_16x16x32_i8 v[96:99], a[18:19], v[82:83], v[96:99]// 0000000029AC: D3D70060 0D82A512
	buffer_load_dwordx4 a[40:43], v27, s[16:19], 0 offen       // 0000000029B4: E05C1000 8084281B
	v_mfma_i32_16x16x32_i8 v[96:99], a[20:21], v[84:85], v[96:99]// 0000000029BC: D3D70060 0D82A914
	v_mfma_i32_16x16x32_i8 v[96:99], a[22:23], v[86:87], v[96:99]// 0000000029C4: D3D70060 0D82AD16
	v_mfma_i32_16x16x32_i8 v[100:103], a[24:25], v[80:81], 0   // 0000000029CC: D3D70064 0A02A118
	v_mfma_i32_16x16x32_i8 v[100:103], a[26:27], v[82:83], v[100:103]// 0000000029D4: D3D70064 0D92A51A
	buffer_load_dwordx4 a[44:47], v27, s[16:19], 0 offen offset:1024// 0000000029DC: E05C1400 80842C1B
	v_mfma_i32_16x16x32_i8 v[100:103], a[28:29], v[84:85], v[100:103]// 0000000029E4: D3D70064 0D92A91C
	v_mfma_i32_16x16x32_i8 v[100:103], a[30:31], v[86:87], v[100:103]// 0000000029EC: D3D70064 0D92AD1E
	buffer_load_dword v45, v3, s[32:35], 0 offen               // 0000000029F4: E0501000 80082D03
	v_mov_b32_dpp v38, v44 row_shr:4 row_mask:0xf bank_mask:0xf// 0000000029FC: 7E4C02FA FF01142C
	v_mov_b32_dpp v39, v44 row_shl:4 row_mask:0xf bank_mask:0xf// 000000002A04: 7E4E02FA FF01042C
	v_cndmask_b32_e64 v124, v44, v38, s[44:45]                 // 000000002A0C: D100007C 00B24D2C
	v_cndmask_b32_e64 v125, v39, v44, s[44:45]                 // 000000002A14: D100007D 00B25927
	v_mov_b32_dpp v38, v55 row_shr:4 row_mask:0xf bank_mask:0xf// 000000002A1C: 7E4C02FA FF011437
	v_mov_b32_dpp v39, v55 row_shl:4 row_mask:0xf bank_mask:0xf// 000000002A24: 7E4E02FA FF010437
	v_cndmask_b32_e64 v126, v55, v38, s[44:45]                 // 000000002A2C: D100007E 00B24D37
	v_cndmask_b32_e64 v127, v39, v55, s[44:45]                 // 000000002A34: D100007F 00B26F27
	v_or_b32_dpp v88, v96, v88 row_shr:8 row_mask:0xf bank_mask:0xf bound_ctrl:1// 000000002A3C: 28B0B0FA FF091860
	v_or_b32_dpp v89, v97, v89 row_shr:8 row_mask:0xf bank_mask:0xf bound_ctrl:1// 000000002A44: 28B2B2FA FF091861
	v_or_b32_dpp v90, v98, v90 row_shr:8 row_mask:0xf bank_mask:0xf bound_ctrl:1// 000000002A4C: 28B4B4FA FF091862
	v_or_b32_dpp v91, v99, v91 row_shr:8 row_mask:0xf bank_mask:0xf bound_ctrl:1// 000000002A54: 28B6B6FA FF091863
	v_or_b32_dpp v92, v100, v92 row_shr:8 row_mask:0xf bank_mask:0xf bound_ctrl:1// 000000002A5C: 28B8B8FA FF091864
	v_or_b32_dpp v93, v101, v93 row_shr:8 row_mask:0xf bank_mask:0xf bound_ctrl:1// 000000002A64: 28BABAFA FF091865
	v_or_b32_dpp v94, v102, v94 row_shr:8 row_mask:0xf bank_mask:0xf bound_ctrl:1// 000000002A6C: 28BCBCFA FF091866
	v_or_b32_dpp v95, v103, v95 row_shr:8 row_mask:0xf bank_mask:0xf bound_ctrl:1// 000000002A74: 28BEBEFA FF091867
	buffer_load_dword v56, v54, s[36:39], 0 offen              // 000000002A7C: E0501000 80093836
	v_cvt_f32_i32_e32 v88, v88                                 // 000000002A84: 7EB00B58
	v_cvt_f32_i32_e32 v89, v89                                 // 000000002A88: 7EB20B59
	v_cvt_f32_i32_e32 v90, v90                                 // 000000002A8C: 7EB40B5A
	v_cvt_f32_i32_e32 v91, v91                                 // 000000002A90: 7EB60B5B
	v_cvt_f32_i32_e32 v92, v92                                 // 000000002A94: 7EB80B5C
	v_cvt_f32_i32_e32 v93, v93                                 // 000000002A98: 7EBA0B5D
	v_cvt_f32_i32_e32 v94, v94                                 // 000000002A9C: 7EBC0B5E
	v_cvt_f32_i32_e32 v95, v95                                 // 000000002AA0: 7EBE0B5F
	v_mul_f32_e32 v88, v46, v88                                // 000000002AA4: 0AB0B12E
	v_mul_f32_e32 v89, v46, v89                                // 000000002AA8: 0AB2B32E
	v_mul_f32_e32 v90, v46, v90                                // 000000002AAC: 0AB4B52E
	v_mul_f32_e32 v91, v46, v91                                // 000000002AB0: 0AB6B72E
	v_mul_f32_e32 v92, v46, v92                                // 000000002AB4: 0AB8B92E
	v_mul_f32_e32 v93, v46, v93                                // 000000002AB8: 0ABABB2E
	v_mul_f32_e32 v94, v46, v94                                // 000000002ABC: 0ABCBD2E
	v_mul_f32_e32 v95, v46, v95                                // 000000002AC0: 0ABEBF2E
	buffer_load_dwordx4 a[48:51], v28, s[16:19], 0 offen       // 000000002AC4: E05C1000 8084301C
	v_mul_f32_dpp v88, v124, v88 quad_perm:[0,0,0,0] row_mask:0xf bank_mask:0xf// 000000002ACC: 0AB0B0FA FF00007C
	v_mul_f32_dpp v89, v124, v89 quad_perm:[1,1,1,1] row_mask:0xf bank_mask:0xf// 000000002AD4: 0AB2B2FA FF00557C
	v_mul_f32_dpp v90, v124, v90 quad_perm:[2,2,2,2] row_mask:0xf bank_mask:0xf// 000000002ADC: 0AB4B4FA FF00AA7C
	v_mul_f32_dpp v91, v124, v91 quad_perm:[3,3,3,3] row_mask:0xf bank_mask:0xf// 000000002AE4: 0AB6B6FA FF00FF7C
	v_mul_f32_dpp v92, v125, v92 quad_perm:[0,0,0,0] row_mask:0xf bank_mask:0xf// 000000002AEC: 0AB8B8FA FF00007D
	v_mul_f32_dpp v93, v125, v93 quad_perm:[1,1,1,1] row_mask:0xf bank_mask:0xf// 000000002AF4: 0ABABAFA FF00557D
	v_mul_f32_dpp v94, v125, v94 quad_perm:[2,2,2,2] row_mask:0xf bank_mask:0xf// 000000002AFC: 0ABCBCFA FF00AA7D
	v_mul_f32_dpp v95, v125, v95 quad_perm:[3,3,3,3] row_mask:0xf bank_mask:0xf// 000000002B04: 0ABEBEFA FF00FF7D
	buffer_load_dwordx4 a[52:55], v28, s[16:19], 0 offen offset:1024// 000000002B0C: E05C1400 8084341C
	v_mov_b32_e32 v48, v88                                     // 000000002B14: 7E600358
	v_max3_f32 v48, v88, v89, v48                              // 000000002B18: D1D30030 04C2B358
	v_max3_f32 v48, v90, v91, v48                              // 000000002B20: D1D30030 04C2B75A
	v_max3_f32 v48, v92, v93, v48                              // 000000002B28: D1D30030 04C2BB5C
	v_max3_f32 v48, v94, v95, v48                              // 000000002B30: D1D30030 04C2BF5E
	ds_write_b32 v11, v48 offset:4224                          // 000000002B38: D81A1080 0000300B
	buffer_load_dwordx4 a[56:59], v29, s[16:19], 0 offen       // 000000002B40: E05C1000 8084381D
	v_mul_u32_u24_dpp v38, v17, v51 row_newbcast:1 row_mask:0xf bank_mask:0xf// 000000002B48: 104C66FA FF015111
	v_mul_u32_u24_dpp v39, v17, v51 row_newbcast:5 row_mask:0xf bank_mask:0xf// 000000002B50: 104E66FA FF015511
	v_mul_u32_u24_dpp v40, v17, v51 row_newbcast:9 row_mask:0xf bank_mask:0xf// 000000002B58: 105066FA FF015911
	v_mul_u32_u24_dpp v41, v17, v51 row_newbcast:13 row_mask:0xf bank_mask:0xf// 000000002B60: 105266FA FF015D11
	v_add_u32_e32 v34, v38, v7                                 // 000000002B68: 68440F26
	v_add_u32_e32 v35, v39, v7                                 // 000000002B6C: 68460F27
	v_add_u32_e32 v36, v40, v7                                 // 000000002B70: 68480F28
	v_add_u32_e32 v37, v41, v7                                 // 000000002B74: 684A0F29
	s_waitcnt lgkmcnt(0)                                       // 000000002B78: BF8CC07F
	s_barrier                                                  // 000000002B7C: BF8A0000
	ds_read_b32 v64, v10 offset:4224                           // 000000002B80: D86C1080 4000000A
	ds_read_b32 v65, v10 offset:4288                           // 000000002B88: D86C10C0 4100000A
	ds_read_b32 v66, v10 offset:4352                           // 000000002B90: D86C1100 4200000A
	ds_read_b32 v67, v10 offset:4416                           // 000000002B98: D86C1140 4300000A
	ds_read_b32 v68, v10 offset:4480                           // 000000002BA0: D86C1180 4400000A
	ds_read_b32 v69, v10 offset:4544                           // 000000002BA8: D86C11C0 4500000A
	ds_read_b32 v70, v10 offset:4608                           // 000000002BB0: D86C1200 4600000A
	ds_read_b32 v71, v10 offset:4672                           // 000000002BB8: D86C1240 4700000A
	ds_read_b32 v72, v10 offset:4736                           // 000000002BC0: D86C1280 4800000A
	ds_read_b32 v73, v10 offset:4800                           // 000000002BC8: D86C12C0 4900000A
	ds_read_b32 v74, v10 offset:4864                           // 000000002BD0: D86C1300 4A00000A
	ds_read_b32 v75, v10 offset:4928                           // 000000002BD8: D86C1340 4B00000A
	ds_read_b32 v76, v10 offset:4992                           // 000000002BE0: D86C1380 4C00000A
	ds_read_b32 v77, v10 offset:5056                           // 000000002BE8: D86C13C0 4D00000A
	ds_read_b32 v78, v10 offset:5120                           // 000000002BF0: D86C1400 4E00000A
	ds_read_b32 v79, v10 offset:5184                           // 000000002BF8: D86C1440 4F00000A
	buffer_load_dwordx4 a[60:63], v29, s[16:19], 0 offen offset:1024// 000000002C00: E05C1400 80843C1D
	v_mul_f32_e32 v112, v49, v112                              // 000000002C08: 0AE0E131
	v_mul_f32_e32 v113, v49, v113                              // 000000002C0C: 0AE2E331
	v_mul_f32_e32 v114, v49, v114                              // 000000002C10: 0AE4E531
	v_mul_f32_e32 v115, v49, v115                              // 000000002C14: 0AE6E731
	v_or_b32_dpp v104, v108, v104 row_shr:8 row_mask:0xf bank_mask:0xf bound_ctrl:1// 000000002C18: 28D0D0FA FF09186C
	v_or_b32_dpp v105, v109, v105 row_shr:8 row_mask:0xf bank_mask:0xf bound_ctrl:1// 000000002C20: 28D2D2FA FF09186D
	v_or_b32_dpp v106, v110, v106 row_shr:8 row_mask:0xf bank_mask:0xf bound_ctrl:1// 000000002C28: 28D4D4FA FF09186E
	v_or_b32_dpp v107, v111, v107 row_shr:8 row_mask:0xf bank_mask:0xf bound_ctrl:1// 000000002C30: 28D6D6FA FF09186F
	s_waitcnt lgkmcnt(0)                                       // 000000002C38: BF8CC07F
	v_max3_f32 v48, v64, v65, v48                              // 000000002C3C: D1D30030 04C28340
	v_max3_f32 v48, v66, v67, v48                              // 000000002C44: D1D30030 04C28742
	v_max3_f32 v48, v68, v69, v48                              // 000000002C4C: D1D30030 04C28B44
	v_max3_f32 v48, v70, v71, v48                              // 000000002C54: D1D30030 04C28F46
	v_max3_f32 v48, v72, v73, v48                              // 000000002C5C: D1D30030 04C29348
	v_max3_f32 v48, v74, v75, v48                              // 000000002C64: D1D30030 04C2974A
	v_max3_f32 v48, v76, v77, v48                              // 000000002C6C: D1D30030 04C29B4C
	v_max3_f32 v48, v78, v79, v48                              // 000000002C74: D1D30030 04C29F4E
	buffer_load_dwordx4 a[96:99], v34, s[20:23], 0 offen       // 000000002C7C: E05C1000 80856022
	v_cmp_eq_u32_e64 s[40:41], v52, v14                        // 000000002C84: D0CA0028 00021D34
	s_nop 1                                                    // 000000002C8C: BF800001
	v_mov_b32_dpp v38, v48 row_ror:8 row_mask:0xf bank_mask:0xf// 000000002C90: 7E4C02FA FF012830
	v_max_f32_e32 v48, v48, v38                                // 000000002C98: 16604D30
	v_max_f32_e32 v15, v48, v14                                // 000000002C9C: 161E1D30
	v_mul_f32_e32 v50, s64, v15                                // 000000002CA0: 0A641E40
	v_fma_f32 v88, v88, s64, -v50                              // 000000002CA4: D1CB0058 84C88158
	v_fma_f32 v89, v89, s64, -v50                              // 000000002CAC: D1CB0059 84C88159
	v_fma_f32 v90, v90, s64, -v50                              // 000000002CB4: D1CB005A 84C8815A
	v_fma_f32 v91, v91, s64, -v50                              // 000000002CBC: D1CB005B 84C8815B
	v_fma_f32 v92, v92, s64, -v50                              // 000000002CC4: D1CB005C 84C8815C
	v_fma_f32 v93, v93, s64, -v50                              // 000000002CCC: D1CB005D 84C8815D
	v_fma_f32 v94, v94, s64, -v50                              // 000000002CD4: D1CB005E 84C8815E
	v_fma_f32 v95, v95, s64, -v50                              // 000000002CDC: D1CB005F 84C8815F
	buffer_load_dwordx4 a[100:103], v35, s[20:23], 0 offen     // 000000002CE4: E05C1000 80856423
	v_exp_f32_e32 v88, v88                                     // 000000002CEC: 7EB04158
	v_exp_f32_e32 v89, v89                                     // 000000002CF0: 7EB24159
	v_exp_f32_e32 v90, v90                                     // 000000002CF4: 7EB4415A
	v_exp_f32_e32 v91, v91                                     // 000000002CF8: 7EB6415B
	v_exp_f32_e32 v92, v92                                     // 000000002CFC: 7EB8415C
	v_exp_f32_e32 v93, v93                                     // 000000002D00: 7EBA415D
	v_exp_f32_e32 v94, v94                                     // 000000002D04: 7EBC415E
	v_exp_f32_e32 v95, v95                                     // 000000002D08: 7EBE415F
	buffer_load_dwordx4 a[104:107], v36, s[20:23], 0 offen     // 000000002D0C: E05C1000 80856824
	v_mul_f32_dpp v116, v126, v88 quad_perm:[0,0,0,0] row_mask:0xf bank_mask:0xf// 000000002D14: 0AE8B0FA FF00007E
	v_mul_f32_dpp v117, v126, v89 quad_perm:[1,1,1,1] row_mask:0xf bank_mask:0xf// 000000002D1C: 0AEAB2FA FF00557E
	v_mul_f32_dpp v118, v126, v90 quad_perm:[2,2,2,2] row_mask:0xf bank_mask:0xf// 000000002D24: 0AECB4FA FF00AA7E
	v_mul_f32_dpp v119, v126, v91 quad_perm:[3,3,3,3] row_mask:0xf bank_mask:0xf// 000000002D2C: 0AEEB6FA FF00FF7E
	v_mul_f32_dpp v120, v127, v92 quad_perm:[0,0,0,0] row_mask:0xf bank_mask:0xf// 000000002D34: 0AF0B8FA FF00007F
	v_mul_f32_dpp v121, v127, v93 quad_perm:[1,1,1,1] row_mask:0xf bank_mask:0xf// 000000002D3C: 0AF2BAFA FF00557F
	v_mul_f32_dpp v122, v127, v94 quad_perm:[2,2,2,2] row_mask:0xf bank_mask:0xf// 000000002D44: 0AF4BCFA FF00AA7F
	v_mul_f32_dpp v123, v127, v95 quad_perm:[3,3,3,3] row_mask:0xf bank_mask:0xf// 000000002D4C: 0AF6BEFA FF00FF7F
	v_mov_b32_e32 v48, 0x358637bd                              // 000000002D54: 7E6002FF 358637BD
	v_max3_f32 v48, |v116|, |v117|, v48                        // 000000002D5C: D1D30330 04C2EB74
	v_max3_f32 v48, |v118|, |v119|, v48                        // 000000002D64: D1D30330 04C2EF76
	v_max3_f32 v48, |v120|, |v121|, v48                        // 000000002D6C: D1D30330 04C2F378
	v_max3_f32 v48, |v122|, |v123|, v48                        // 000000002D74: D1D30330 04C2F77A
	buffer_load_dwordx4 a[108:111], v37, s[20:23], 0 offen     // 000000002D7C: E05C1000 80856C25
	ds_write_b32 v11, v48 offset:5248                          // 000000002D84: D81A1480 0000300B
	v_sub_f32_e32 v49, v14, v15                                // 000000002D8C: 04621F0E
	v_cndmask_b32_e64 v49, v49, 0, s[40:41]                    // 000000002D90: D1000031 00A10131
	v_mov_b32_e32 v14, v15                                     // 000000002D98: 7E1C030F
	v_mul_f32_e32 v49, s64, v49                                // 000000002D9C: 0A626240
	v_exp_f32_e32 v49, v49                                     // 000000002DA0: 7E624131
	s_waitcnt lgkmcnt(0)                                       // 000000002DA4: BF8CC07F
	s_barrier                                                  // 000000002DA8: BF8A0000
	ds_read_b32 v64, v10 offset:5248                           // 000000002DAC: D86C1480 4000000A
	ds_read_b32 v65, v10 offset:5312                           // 000000002DB4: D86C14C0 4100000A
	ds_read_b32 v66, v10 offset:5376                           // 000000002DBC: D86C1500 4200000A
	ds_read_b32 v67, v10 offset:5440                           // 000000002DC4: D86C1540 4300000A
	ds_read_b32 v68, v10 offset:5504                           // 000000002DCC: D86C1580 4400000A
	ds_read_b32 v69, v10 offset:5568                           // 000000002DD4: D86C15C0 4500000A
	ds_read_b32 v70, v10 offset:5632                           // 000000002DDC: D86C1600 4600000A
	ds_read_b32 v71, v10 offset:5696                           // 000000002DE4: D86C1640 4700000A
	ds_read_b32 v72, v10 offset:5760                           // 000000002DEC: D86C1680 4800000A
	ds_read_b32 v73, v10 offset:5824                           // 000000002DF4: D86C16C0 4900000A
	ds_read_b32 v74, v10 offset:5888                           // 000000002DFC: D86C1700 4A00000A
	ds_read_b32 v75, v10 offset:5952                           // 000000002E04: D86C1740 4B00000A
	ds_read_b32 v76, v10 offset:6016                           // 000000002E0C: D86C1780 4C00000A
	ds_read_b32 v77, v10 offset:6080                           // 000000002E14: D86C17C0 4D00000A
	ds_read_b32 v78, v10 offset:6144                           // 000000002E1C: D86C1800 4E00000A
	ds_read_b32 v79, v10 offset:6208                           // 000000002E24: D86C1840 4F00000A
	v_mul_f32_e32 v42, v49, v42                                // 000000002E2C: 0A545531
	v_mov_b32_e32 v43, v88                                     // 000000002E30: 7E560358
	v_add_f32_e32 v43, v89, v43                                // 000000002E34: 02565759
	v_add_f32_e32 v43, v90, v43                                // 000000002E38: 0256575A
	v_add_f32_e32 v43, v91, v43                                // 000000002E3C: 0256575B
	v_add_f32_e32 v43, v92, v43                                // 000000002E40: 0256575C
	v_add_f32_e32 v43, v93, v43                                // 000000002E44: 0256575D
	v_add_f32_e32 v43, v94, v43                                // 000000002E48: 0256575E
	v_add_f32_e32 v43, v95, v43                                // 000000002E4C: 0256575F
	v_add_f32_e32 v42, v43, v42                                // 000000002E50: 0254552B
	s_waitcnt lgkmcnt(0)                                       // 000000002E54: BF8CC07F
	v_max3_f32 v48, |v64|, |v65|, v48                          // 000000002E58: D1D30330 04C28340
	v_max3_f32 v48, |v66|, |v67|, v48                          // 000000002E60: D1D30330 04C28742
	v_max3_f32 v48, |v68|, |v69|, v48                          // 000000002E68: D1D30330 04C28B44
	v_max3_f32 v48, |v70|, |v71|, v48                          // 000000002E70: D1D30330 04C28F46
	v_max3_f32 v48, |v72|, |v73|, v48                          // 000000002E78: D1D30330 04C29348
	v_max3_f32 v48, |v74|, |v75|, v48                          // 000000002E80: D1D30330 04C2974A
	v_max3_f32 v48, |v76|, |v77|, v48                          // 000000002E88: D1D30330 04C29B4C
	v_max3_f32 v48, |v78|, |v79|, v48                          // 000000002E90: D1D30330 04C29F4E
	s_nop 2                                                    // 000000002E98: BF800002
	v_mov_b32_dpp v38, v48 row_ror:8 row_mask:0xf bank_mask:0xf// 000000002E9C: 7E4C02FA FF012830
	v_max_f32_e32 v48, v48, v38                                // 000000002EA4: 16604D30
	v_rcp_f32_e32 v48, v48                                     // 000000002EA8: 7E604530
	s_nop 1                                                    // 000000002EAC: BF800001
	v_mul_f32_e32 v48, 0x42fe0000, v48                         // 000000002EB0: 0A6060FF 42FE0000
	v_mul_f32_e32 v88, v48, v116                               // 000000002EB8: 0AB0E930
	v_mul_f32_e32 v89, v48, v117                               // 000000002EBC: 0AB2EB30
	v_mul_f32_e32 v90, v48, v118                               // 000000002EC0: 0AB4ED30
	v_mul_f32_e32 v91, v48, v119                               // 000000002EC4: 0AB6EF30
	v_mul_f32_e32 v92, v48, v120                               // 000000002EC8: 0AB8F130
	v_mul_f32_e32 v93, v48, v121                               // 000000002ECC: 0ABAF330
	v_mul_f32_e32 v94, v48, v122                               // 000000002ED0: 0ABCF530
	v_mul_f32_e32 v95, v48, v123                               // 000000002ED4: 0ABEF730
	v_cvt_i32_f32_e32 v88, v88                                 // 000000002ED8: 7EB01158
	v_cvt_i32_f32_e32 v89, v89                                 // 000000002EDC: 7EB21159
	v_cvt_i32_f32_e32 v90, v90                                 // 000000002EE0: 7EB4115A
	v_cvt_i32_f32_e32 v91, v91                                 // 000000002EE4: 7EB6115B
	v_cvt_i32_f32_e32 v92, v92                                 // 000000002EE8: 7EB8115C
	v_cvt_i32_f32_e32 v93, v93                                 // 000000002EEC: 7EBA115D
	v_cvt_i32_f32_e32 v94, v94                                 // 000000002EF0: 7EBC115E
	v_cvt_i32_f32_e32 v95, v95                                 // 000000002EF4: 7EBE115F
	v_perm_b32 v88, v89, v88, s53                              // 000000002EF8: D1ED0058 00D6B159
	v_perm_b32 v88, v90, v88, s54                              // 000000002F00: D1ED0058 00DAB15A
	v_perm_b32 v88, v91, v88, s55                              // 000000002F08: D1ED0058 00DEB15B
	v_perm_b32 v89, v93, v92, s53                              // 000000002F10: D1ED0059 00D6B95D
	v_perm_b32 v89, v94, v89, s54                              // 000000002F18: D1ED0059 00DAB35E
	v_perm_b32 v89, v95, v89, s55                              // 000000002F20: D1ED0059 00DEB35F
	ds_write_b32 v13, v88 offset:6272                          // 000000002F28: D81A1880 0000580D
	ds_write_b32 v13, v89 offset:7296                          // 000000002F30: D81A1C80 0000590D
	v_cvt_f32_i32_e32 v104, v104                               // 000000002F38: 7ED00B68
	v_cvt_f32_i32_e32 v105, v105                               // 000000002F3C: 7ED20B69
	v_cvt_f32_i32_e32 v106, v106                               // 000000002F40: 7ED40B6A
	v_cvt_f32_i32_e32 v107, v107                               // 000000002F44: 7ED60B6B
	v_mul_f32_e32 v104, v47, v104                              // 000000002F48: 0AD0D12F
	v_mul_f32_e32 v105, v47, v105                              // 000000002F4C: 0AD2D32F
	v_mul_f32_e32 v106, v47, v106                              // 000000002F50: 0AD4D52F
	v_mul_f32_e32 v107, v47, v107                              // 000000002F54: 0AD6D72F
	v_rcp_f32_e32 v47, v48                                     // 000000002F58: 7E5E4530
	s_waitcnt lgkmcnt(0)                                       // 000000002F5C: BF8CC07F
	s_barrier                                                  // 000000002F60: BF8A0000
	ds_read_b64 v[88:89], v12 offset:6272                      // 000000002F64: D8EC1880 5800000C
	ds_read_b64 v[90:91], v12 offset:6400                      // 000000002F6C: D8EC1900 5A00000C
	ds_read_b64 v[92:93], v12 offset:7296                      // 000000002F74: D8EC1C80 5C00000C
	ds_read_b64 v[94:95], v12 offset:7424                      // 000000002F7C: D8EC1D00 5E00000C
	v_add_f32_e32 v112, v112, v104                             // 000000002F84: 02E0D170
	v_add_f32_e32 v113, v113, v105                             // 000000002F88: 02E2D371
	v_add_f32_e32 v114, v114, v106                             // 000000002F8C: 02E4D572
	v_add_f32_e32 v115, v115, v107                             // 000000002F90: 02E6D773
	s_waitcnt lgkmcnt(3)                                       // 000000002F94: BF8CC37F
	v_mov_b32_dpp v96, v88 row_shl:8 row_mask:0xf bank_mask:0xf bound_ctrl:1// 000000002F98: 7EC002FA FF090858
	v_and_b32_e32 v88, v88, v9                                 // 000000002FA0: 26B01358
	v_mov_b32_dpp v97, v89 row_shl:8 row_mask:0xf bank_mask:0xf bound_ctrl:1// 000000002FA4: 7EC202FA FF090859
	v_and_b32_e32 v89, v89, v9                                 // 000000002FAC: 26B21359
	s_waitcnt lgkmcnt(2)                                       // 000000002FB0: BF8CC27F
	v_mov_b32_dpp v98, v90 row_shl:8 row_mask:0xf bank_mask:0xf bound_ctrl:1// 000000002FB4: 7EC402FA FF09085A
	v_and_b32_e32 v90, v90, v9                                 // 000000002FBC: 26B4135A
	v_mov_b32_dpp v99, v91 row_shl:8 row_mask:0xf bank_mask:0xf bound_ctrl:1// 000000002FC0: 7EC602FA FF09085B
	v_and_b32_e32 v91, v91, v9                                 // 000000002FC8: 26B6135B
	s_waitcnt lgkmcnt(1)                                       // 000000002FCC: BF8CC17F
	v_mov_b32_dpp v100, v92 row_shl:8 row_mask:0xf bank_mask:0xf bound_ctrl:1// 000000002FD0: 7EC802FA FF09085C
	v_and_b32_e32 v92, v92, v9                                 // 000000002FD8: 26B8135C
	v_mov_b32_dpp v101, v93 row_shl:8 row_mask:0xf bank_mask:0xf bound_ctrl:1// 000000002FDC: 7ECA02FA FF09085D
	v_and_b32_e32 v93, v93, v9                                 // 000000002FE4: 26BA135D
	s_waitcnt lgkmcnt(0)                                       // 000000002FE8: BF8CC07F
	v_mov_b32_dpp v102, v94 row_shl:8 row_mask:0xf bank_mask:0xf bound_ctrl:1// 000000002FEC: 7ECC02FA FF09085E
	v_and_b32_e32 v94, v94, v9                                 // 000000002FF4: 26BC135E
	v_mov_b32_dpp v103, v95 row_shl:8 row_mask:0xf bank_mask:0xf bound_ctrl:1// 000000002FF8: 7ECE02FA FF09085F
	v_and_b32_e32 v95, v95, v9                                 // 000000003000: 26BE135F
	s_waitcnt vmcnt(15)                                        // 000000003004: BF8C0F7F
	v_mfma_i32_16x16x32_i8 v[104:107], a[64:65], v[88:89], 0   // 000000003008: D3D70068 0A02B140
	v_mfma_i32_16x16x32_i8 v[104:107], a[66:67], v[90:91], v[104:107]// 000000003010: D3D70068 0DA2B542
	buffer_load_dwordx4 a[112:115], v34, s[20:23], 0 offen offset:1024// 000000003018: E05C1400 80857022
	v_mfma_i32_16x16x32_i8 v[104:107], a[68:69], v[92:93], v[104:107]// 000000003020: D3D70068 0DA2B944
	v_mfma_i32_16x16x32_i8 v[104:107], a[70:71], v[94:95], v[104:107]// 000000003028: D3D70068 0DA2BD46
	v_mfma_i32_16x16x32_i8 v[104:107], a[72:73], v[96:97], v[104:107]// 000000003030: D3D70068 0DA2C148
	v_mfma_i32_16x16x32_i8 v[104:107], a[74:75], v[98:99], v[104:107]// 000000003038: D3D70068 0DA2C54A
	buffer_load_dwordx4 a[116:119], v35, s[20:23], 0 offen offset:1024// 000000003040: E05C1400 80857423
	v_mfma_i32_16x16x32_i8 v[104:107], a[76:77], v[100:101], v[104:107]// 000000003048: D3D70068 0DA2C94C
	v_mfma_i32_16x16x32_i8 v[104:107], a[78:79], v[102:103], v[104:107]// 000000003050: D3D70068 0DA2CD4E
	v_mfma_i32_16x16x32_i8 v[108:111], a[80:81], v[88:89], 0   // 000000003058: D3D7006C 0A02B150
	v_mfma_i32_16x16x32_i8 v[108:111], a[82:83], v[90:91], v[108:111]// 000000003060: D3D7006C 0DB2B552
	buffer_load_dwordx4 a[120:123], v36, s[20:23], 0 offen offset:1024// 000000003068: E05C1400 80857824
	v_mfma_i32_16x16x32_i8 v[108:111], a[84:85], v[92:93], v[108:111]// 000000003070: D3D7006C 0DB2B954
	v_mfma_i32_16x16x32_i8 v[108:111], a[86:87], v[94:95], v[108:111]// 000000003078: D3D7006C 0DB2BD56
	v_mfma_i32_16x16x32_i8 v[108:111], a[88:89], v[96:97], v[108:111]// 000000003080: D3D7006C 0DB2C158
	v_mfma_i32_16x16x32_i8 v[108:111], a[90:91], v[98:99], v[108:111]// 000000003088: D3D7006C 0DB2C55A
	buffer_load_dwordx4 a[124:127], v37, s[20:23], 0 offen offset:1024// 000000003090: E05C1400 80857C25
	v_mfma_i32_16x16x32_i8 v[108:111], a[92:93], v[100:101], v[108:111]// 000000003098: D3D7006C 0DB2C95C
	s_lshr_b32 s57, s70, 4                                     // 0000000030A0: 8F398446
	s_add_u32 s57, 48, s57                                     // 0000000030A4: 803939B0
	v_mfma_i32_16x16x32_i8 v[108:111], a[94:95], v[102:103], v[108:111]// 0000000030A8: D3D7006C 0DB2CD5E
	s_cmp_ge_u32 s57, s73                                      // 0000000030B0: BF094939
	s_cselect_b32 s56, 0, s56                                  // 0000000030B4: 85383880
	v_add_u32_e32 v1, s56, v1                                  // 0000000030B8: 68020238
	s_addk_i32 s70, 0x100                                      // 0000000030BC: B7460100
	s_cmp_lt_i32 s70, s71                                      // 0000000030C0: BF044746
	s_cbranch_scc0 label_05E5                                  // 0000000030C4: BF8401F3
	s_waitcnt vmcnt(8) lgkmcnt(0)                              // 0000000030C8: BF8C0078
	v_mul_u32_u24_dpp v38, v16, v51 row_newbcast:0 row_mask:0xf bank_mask:0xf// 0000000030CC: 104C66FA FF015010
	v_mul_u32_u24_dpp v39, v16, v51 row_newbcast:4 row_mask:0xf bank_mask:0xf// 0000000030D4: 104E66FA FF015410
	v_mul_u32_u24_dpp v40, v16, v51 row_newbcast:8 row_mask:0xf bank_mask:0xf// 0000000030DC: 105066FA FF015810
	v_mul_u32_u24_dpp v41, v16, v51 row_newbcast:12 row_mask:0xf bank_mask:0xf// 0000000030E4: 105266FA FF015C10
	v_add_u32_e32 v22, v38, v6                                 // 0000000030EC: 682C0D26
	v_add_u32_e32 v23, v39, v6                                 // 0000000030F0: 682E0D27
	v_add_u32_e32 v24, v40, v6                                 // 0000000030F4: 68300D28
	v_add_u32_e32 v25, v41, v6                                 // 0000000030F8: 68320D29
	v_mul_u32_u24_dpp v38, v16, v61 quad_perm:[0,0,0,0] row_mask:0xf bank_mask:0xf// 0000000030FC: 104C7AFA FF000010
	v_add_u32_e32 v2, v38, v57                                 // 000000003104: 68047326
	v_mul_u32_u24_dpp v38, v16, v61 quad_perm:[0,0,0,0] row_mask:0xf bank_mask:0xf// 000000003108: 104C7AFA FF000010
	v_add_u32_e32 v53, v38, v58                                // 000000003110: 686A7526
	v_mfma_i32_16x16x32_i8 v[88:91], a[32:33], v[80:81], 0     // 000000003114: D3D70058 0A02A120
	v_mfma_i32_16x16x32_i8 v[88:91], a[34:35], v[82:83], v[88:91]// 00000000311C: D3D70058 0D62A522
	buffer_load_dwordx4 a[0:3], v22, s[16:19], 0 offen         // 000000003124: E05C1000 80840016
	v_mfma_i32_16x16x32_i8 v[88:91], a[36:37], v[84:85], v[88:91]// 00000000312C: D3D70058 0D62A924
	v_mfma_i32_16x16x32_i8 v[88:91], a[38:39], v[86:87], v[88:91]// 000000003134: D3D70058 0D62AD26
	buffer_load_dword v17, v1, s[24:27], 0 offen               // 00000000313C: E0501000 80061101
	v_mfma_i32_16x16x32_i8 v[92:95], a[40:41], v[80:81], 0     // 000000003144: D3D7005C 0A02A128
	v_mfma_i32_16x16x32_i8 v[92:95], a[42:43], v[82:83], v[92:95]// 00000000314C: D3D7005C 0D72A52A
	buffer_load_dwordx4 a[4:7], v22, s[16:19], 0 offen offset:1024// 000000003154: E05C1400 80840416
	v_mfma_i32_16x16x32_i8 v[92:95], a[44:45], v[84:85], v[92:95]// 00000000315C: D3D7005C 0D72A92C
	v_mfma_i32_16x16x32_i8 v[92:95], a[46:47], v[86:87], v[92:95]// 000000003164: D3D7005C 0D72AD2E
	v_mfma_i32_16x16x32_i8 v[96:99], a[48:49], v[80:81], 0     // 00000000316C: D3D70060 0A02A130
	v_mfma_i32_16x16x32_i8 v[96:99], a[50:51], v[82:83], v[96:99]// 000000003174: D3D70060 0D82A532
	buffer_load_dwordx4 a[8:11], v23, s[16:19], 0 offen        // 00000000317C: E05C1000 80840817
	v_mfma_i32_16x16x32_i8 v[96:99], a[52:53], v[84:85], v[96:99]// 000000003184: D3D70060 0D82A934
	v_mfma_i32_16x16x32_i8 v[96:99], a[54:55], v[86:87], v[96:99]// 00000000318C: D3D70060 0D82AD36
	v_mfma_i32_16x16x32_i8 v[100:103], a[56:57], v[80:81], 0   // 000000003194: D3D70064 0A02A138
	v_mfma_i32_16x16x32_i8 v[100:103], a[58:59], v[82:83], v[100:103]// 00000000319C: D3D70064 0D92A53A
	buffer_load_dwordx4 a[12:15], v23, s[16:19], 0 offen offset:1024// 0000000031A4: E05C1400 80840C17
	v_mfma_i32_16x16x32_i8 v[100:103], a[60:61], v[84:85], v[100:103]// 0000000031AC: D3D70064 0D92A93C
	v_mfma_i32_16x16x32_i8 v[100:103], a[62:63], v[86:87], v[100:103]// 0000000031B4: D3D70064 0D92AD3E
	buffer_load_dword v44, v2, s[32:35], 0 offen               // 0000000031BC: E0501000 80082C02
	v_mov_b32_dpp v38, v45 row_shr:4 row_mask:0xf bank_mask:0xf// 0000000031C4: 7E4C02FA FF01142D
	v_mov_b32_dpp v39, v45 row_shl:4 row_mask:0xf bank_mask:0xf// 0000000031CC: 7E4E02FA FF01042D
	v_cndmask_b32_e64 v124, v45, v38, s[44:45]                 // 0000000031D4: D100007C 00B24D2D
	v_cndmask_b32_e64 v125, v39, v45, s[44:45]                 // 0000000031DC: D100007D 00B25B27
	v_mov_b32_dpp v38, v56 row_shr:4 row_mask:0xf bank_mask:0xf// 0000000031E4: 7E4C02FA FF011438
	v_mov_b32_dpp v39, v56 row_shl:4 row_mask:0xf bank_mask:0xf// 0000000031EC: 7E4E02FA FF010438
	v_cndmask_b32_e64 v126, v56, v38, s[44:45]                 // 0000000031F4: D100007E 00B24D38
	v_cndmask_b32_e64 v127, v39, v56, s[44:45]                 // 0000000031FC: D100007F 00B27127
	v_or_b32_dpp v88, v96, v88 row_shr:8 row_mask:0xf bank_mask:0xf bound_ctrl:1// 000000003204: 28B0B0FA FF091860
	v_or_b32_dpp v89, v97, v89 row_shr:8 row_mask:0xf bank_mask:0xf bound_ctrl:1// 00000000320C: 28B2B2FA FF091861
	v_or_b32_dpp v90, v98, v90 row_shr:8 row_mask:0xf bank_mask:0xf bound_ctrl:1// 000000003214: 28B4B4FA FF091862
	v_or_b32_dpp v91, v99, v91 row_shr:8 row_mask:0xf bank_mask:0xf bound_ctrl:1// 00000000321C: 28B6B6FA FF091863
	v_or_b32_dpp v92, v100, v92 row_shr:8 row_mask:0xf bank_mask:0xf bound_ctrl:1// 000000003224: 28B8B8FA FF091864
	v_or_b32_dpp v93, v101, v93 row_shr:8 row_mask:0xf bank_mask:0xf bound_ctrl:1// 00000000322C: 28BABAFA FF091865
	v_or_b32_dpp v94, v102, v94 row_shr:8 row_mask:0xf bank_mask:0xf bound_ctrl:1// 000000003234: 28BCBCFA FF091866
	v_or_b32_dpp v95, v103, v95 row_shr:8 row_mask:0xf bank_mask:0xf bound_ctrl:1// 00000000323C: 28BEBEFA FF091867
	buffer_load_dword v55, v53, s[36:39], 0 offen              // 000000003244: E0501000 80093735
	v_cvt_f32_i32_e32 v88, v88                                 // 00000000324C: 7EB00B58
	v_cvt_f32_i32_e32 v89, v89                                 // 000000003250: 7EB20B59
	v_cvt_f32_i32_e32 v90, v90                                 // 000000003254: 7EB40B5A
	v_cvt_f32_i32_e32 v91, v91                                 // 000000003258: 7EB60B5B
	v_cvt_f32_i32_e32 v92, v92                                 // 00000000325C: 7EB80B5C
	v_cvt_f32_i32_e32 v93, v93                                 // 000000003260: 7EBA0B5D
	v_cvt_f32_i32_e32 v94, v94                                 // 000000003264: 7EBC0B5E
	v_cvt_f32_i32_e32 v95, v95                                 // 000000003268: 7EBE0B5F
	v_mul_f32_e32 v88, v46, v88                                // 00000000326C: 0AB0B12E
	v_mul_f32_e32 v89, v46, v89                                // 000000003270: 0AB2B32E
	v_mul_f32_e32 v90, v46, v90                                // 000000003274: 0AB4B52E
	v_mul_f32_e32 v91, v46, v91                                // 000000003278: 0AB6B72E
	v_mul_f32_e32 v92, v46, v92                                // 00000000327C: 0AB8B92E
	v_mul_f32_e32 v93, v46, v93                                // 000000003280: 0ABABB2E
	v_mul_f32_e32 v94, v46, v94                                // 000000003284: 0ABCBD2E
	v_mul_f32_e32 v95, v46, v95                                // 000000003288: 0ABEBF2E
	buffer_load_dwordx4 a[16:19], v24, s[16:19], 0 offen       // 00000000328C: E05C1000 80841018
	v_mul_f32_dpp v88, v124, v88 quad_perm:[0,0,0,0] row_mask:0xf bank_mask:0xf// 000000003294: 0AB0B0FA FF00007C
	v_mul_f32_dpp v89, v124, v89 quad_perm:[1,1,1,1] row_mask:0xf bank_mask:0xf// 00000000329C: 0AB2B2FA FF00557C
	v_mul_f32_dpp v90, v124, v90 quad_perm:[2,2,2,2] row_mask:0xf bank_mask:0xf// 0000000032A4: 0AB4B4FA FF00AA7C
	v_mul_f32_dpp v91, v124, v91 quad_perm:[3,3,3,3] row_mask:0xf bank_mask:0xf// 0000000032AC: 0AB6B6FA FF00FF7C
	v_mul_f32_dpp v92, v125, v92 quad_perm:[0,0,0,0] row_mask:0xf bank_mask:0xf// 0000000032B4: 0AB8B8FA FF00007D
	v_mul_f32_dpp v93, v125, v93 quad_perm:[1,1,1,1] row_mask:0xf bank_mask:0xf// 0000000032BC: 0ABABAFA FF00557D
	v_mul_f32_dpp v94, v125, v94 quad_perm:[2,2,2,2] row_mask:0xf bank_mask:0xf// 0000000032C4: 0ABCBCFA FF00AA7D
	v_mul_f32_dpp v95, v125, v95 quad_perm:[3,3,3,3] row_mask:0xf bank_mask:0xf// 0000000032CC: 0ABEBEFA FF00FF7D
	buffer_load_dwordx4 a[20:23], v24, s[16:19], 0 offen offset:1024// 0000000032D4: E05C1400 80841418
	v_mov_b32_e32 v48, v88                                     // 0000000032DC: 7E600358
	v_max3_f32 v48, v88, v89, v48                              // 0000000032E0: D1D30030 04C2B358
	v_max3_f32 v48, v90, v91, v48                              // 0000000032E8: D1D30030 04C2B75A
	v_max3_f32 v48, v92, v93, v48                              // 0000000032F0: D1D30030 04C2BB5C
	v_max3_f32 v48, v94, v95, v48                              // 0000000032F8: D1D30030 04C2BF5E
	ds_write_b32 v11, v48 offset:4224                          // 000000003300: D81A1080 0000300B
	buffer_load_dwordx4 a[24:27], v25, s[16:19], 0 offen       // 000000003308: E05C1000 80841819
	v_mul_u32_u24_dpp v38, v16, v51 row_newbcast:1 row_mask:0xf bank_mask:0xf// 000000003310: 104C66FA FF015110
	v_mul_u32_u24_dpp v39, v16, v51 row_newbcast:5 row_mask:0xf bank_mask:0xf// 000000003318: 104E66FA FF015510
	v_mul_u32_u24_dpp v40, v16, v51 row_newbcast:9 row_mask:0xf bank_mask:0xf// 000000003320: 105066FA FF015910
	v_mul_u32_u24_dpp v41, v16, v51 row_newbcast:13 row_mask:0xf bank_mask:0xf// 000000003328: 105266FA FF015D10
	v_add_u32_e32 v30, v38, v7                                 // 000000003330: 683C0F26
	v_add_u32_e32 v31, v39, v7                                 // 000000003334: 683E0F27
	v_add_u32_e32 v32, v40, v7                                 // 000000003338: 68400F28
	v_add_u32_e32 v33, v41, v7                                 // 00000000333C: 68420F29
	s_waitcnt lgkmcnt(0)                                       // 000000003340: BF8CC07F
	s_barrier                                                  // 000000003344: BF8A0000
	ds_read_b32 v64, v10 offset:4224                           // 000000003348: D86C1080 4000000A
	ds_read_b32 v65, v10 offset:4288                           // 000000003350: D86C10C0 4100000A
	ds_read_b32 v66, v10 offset:4352                           // 000000003358: D86C1100 4200000A
	ds_read_b32 v67, v10 offset:4416                           // 000000003360: D86C1140 4300000A
	ds_read_b32 v68, v10 offset:4480                           // 000000003368: D86C1180 4400000A
	ds_read_b32 v69, v10 offset:4544                           // 000000003370: D86C11C0 4500000A
	ds_read_b32 v70, v10 offset:4608                           // 000000003378: D86C1200 4600000A
	ds_read_b32 v71, v10 offset:4672                           // 000000003380: D86C1240 4700000A
	ds_read_b32 v72, v10 offset:4736                           // 000000003388: D86C1280 4800000A
	ds_read_b32 v73, v10 offset:4800                           // 000000003390: D86C12C0 4900000A
	ds_read_b32 v74, v10 offset:4864                           // 000000003398: D86C1300 4A00000A
	ds_read_b32 v75, v10 offset:4928                           // 0000000033A0: D86C1340 4B00000A
	ds_read_b32 v76, v10 offset:4992                           // 0000000033A8: D86C1380 4C00000A
	ds_read_b32 v77, v10 offset:5056                           // 0000000033B0: D86C13C0 4D00000A
	ds_read_b32 v78, v10 offset:5120                           // 0000000033B8: D86C1400 4E00000A
	ds_read_b32 v79, v10 offset:5184                           // 0000000033C0: D86C1440 4F00000A
	buffer_load_dwordx4 a[28:31], v25, s[16:19], 0 offen offset:1024// 0000000033C8: E05C1400 80841C19
	v_mul_f32_e32 v112, v49, v112                              // 0000000033D0: 0AE0E131
	v_mul_f32_e32 v113, v49, v113                              // 0000000033D4: 0AE2E331
	v_mul_f32_e32 v114, v49, v114                              // 0000000033D8: 0AE4E531
	v_mul_f32_e32 v115, v49, v115                              // 0000000033DC: 0AE6E731
	v_or_b32_dpp v104, v108, v104 row_shr:8 row_mask:0xf bank_mask:0xf bound_ctrl:1// 0000000033E0: 28D0D0FA FF09186C
	v_or_b32_dpp v105, v109, v105 row_shr:8 row_mask:0xf bank_mask:0xf bound_ctrl:1// 0000000033E8: 28D2D2FA FF09186D
	v_or_b32_dpp v106, v110, v106 row_shr:8 row_mask:0xf bank_mask:0xf bound_ctrl:1// 0000000033F0: 28D4D4FA FF09186E
	v_or_b32_dpp v107, v111, v107 row_shr:8 row_mask:0xf bank_mask:0xf bound_ctrl:1// 0000000033F8: 28D6D6FA FF09186F
	s_waitcnt lgkmcnt(0)                                       // 000000003400: BF8CC07F
	v_max3_f32 v48, v64, v65, v48                              // 000000003404: D1D30030 04C28340
	v_max3_f32 v48, v66, v67, v48                              // 00000000340C: D1D30030 04C28742
	v_max3_f32 v48, v68, v69, v48                              // 000000003414: D1D30030 04C28B44
	v_max3_f32 v48, v70, v71, v48                              // 00000000341C: D1D30030 04C28F46
	v_max3_f32 v48, v72, v73, v48                              // 000000003424: D1D30030 04C29348
	v_max3_f32 v48, v74, v75, v48                              // 00000000342C: D1D30030 04C2974A
	v_max3_f32 v48, v76, v77, v48                              // 000000003434: D1D30030 04C29B4C
	v_max3_f32 v48, v78, v79, v48                              // 00000000343C: D1D30030 04C29F4E
	buffer_load_dwordx4 a[64:67], v30, s[20:23], 0 offen       // 000000003444: E05C1000 8085401E
	v_cmp_eq_u32_e64 s[40:41], v52, v14                        // 00000000344C: D0CA0028 00021D34
	s_nop 1                                                    // 000000003454: BF800001
	v_mov_b32_dpp v38, v48 row_ror:8 row_mask:0xf bank_mask:0xf// 000000003458: 7E4C02FA FF012830
	v_max_f32_e32 v48, v48, v38                                // 000000003460: 16604D30
	v_max_f32_e32 v15, v48, v14                                // 000000003464: 161E1D30
	v_mul_f32_e32 v50, s64, v15                                // 000000003468: 0A641E40
	v_fma_f32 v88, v88, s64, -v50                              // 00000000346C: D1CB0058 84C88158
	v_fma_f32 v89, v89, s64, -v50                              // 000000003474: D1CB0059 84C88159
	v_fma_f32 v90, v90, s64, -v50                              // 00000000347C: D1CB005A 84C8815A
	v_fma_f32 v91, v91, s64, -v50                              // 000000003484: D1CB005B 84C8815B
	v_fma_f32 v92, v92, s64, -v50                              // 00000000348C: D1CB005C 84C8815C
	v_fma_f32 v93, v93, s64, -v50                              // 000000003494: D1CB005D 84C8815D
	v_fma_f32 v94, v94, s64, -v50                              // 00000000349C: D1CB005E 84C8815E
	v_fma_f32 v95, v95, s64, -v50                              // 0000000034A4: D1CB005F 84C8815F
	buffer_load_dwordx4 a[68:71], v31, s[20:23], 0 offen       // 0000000034AC: E05C1000 8085441F
	v_exp_f32_e32 v88, v88                                     // 0000000034B4: 7EB04158
	v_exp_f32_e32 v89, v89                                     // 0000000034B8: 7EB24159
	v_exp_f32_e32 v90, v90                                     // 0000000034BC: 7EB4415A
	v_exp_f32_e32 v91, v91                                     // 0000000034C0: 7EB6415B
	v_exp_f32_e32 v92, v92                                     // 0000000034C4: 7EB8415C
	v_exp_f32_e32 v93, v93                                     // 0000000034C8: 7EBA415D
	v_exp_f32_e32 v94, v94                                     // 0000000034CC: 7EBC415E
	v_exp_f32_e32 v95, v95                                     // 0000000034D0: 7EBE415F
	buffer_load_dwordx4 a[72:75], v32, s[20:23], 0 offen       // 0000000034D4: E05C1000 80854820
	v_mul_f32_dpp v116, v126, v88 quad_perm:[0,0,0,0] row_mask:0xf bank_mask:0xf// 0000000034DC: 0AE8B0FA FF00007E
	v_mul_f32_dpp v117, v126, v89 quad_perm:[1,1,1,1] row_mask:0xf bank_mask:0xf// 0000000034E4: 0AEAB2FA FF00557E
	v_mul_f32_dpp v118, v126, v90 quad_perm:[2,2,2,2] row_mask:0xf bank_mask:0xf// 0000000034EC: 0AECB4FA FF00AA7E
	v_mul_f32_dpp v119, v126, v91 quad_perm:[3,3,3,3] row_mask:0xf bank_mask:0xf// 0000000034F4: 0AEEB6FA FF00FF7E
	v_mul_f32_dpp v120, v127, v92 quad_perm:[0,0,0,0] row_mask:0xf bank_mask:0xf// 0000000034FC: 0AF0B8FA FF00007F
	v_mul_f32_dpp v121, v127, v93 quad_perm:[1,1,1,1] row_mask:0xf bank_mask:0xf// 000000003504: 0AF2BAFA FF00557F
	v_mul_f32_dpp v122, v127, v94 quad_perm:[2,2,2,2] row_mask:0xf bank_mask:0xf// 00000000350C: 0AF4BCFA FF00AA7F
	v_mul_f32_dpp v123, v127, v95 quad_perm:[3,3,3,3] row_mask:0xf bank_mask:0xf// 000000003514: 0AF6BEFA FF00FF7F
	v_mov_b32_e32 v48, 0x358637bd                              // 00000000351C: 7E6002FF 358637BD
	v_max3_f32 v48, |v116|, |v117|, v48                        // 000000003524: D1D30330 04C2EB74
	v_max3_f32 v48, |v118|, |v119|, v48                        // 00000000352C: D1D30330 04C2EF76
	v_max3_f32 v48, |v120|, |v121|, v48                        // 000000003534: D1D30330 04C2F378
	v_max3_f32 v48, |v122|, |v123|, v48                        // 00000000353C: D1D30330 04C2F77A
	buffer_load_dwordx4 a[76:79], v33, s[20:23], 0 offen       // 000000003544: E05C1000 80854C21
	ds_write_b32 v11, v48 offset:5248                          // 00000000354C: D81A1480 0000300B
	v_sub_f32_e32 v49, v14, v15                                // 000000003554: 04621F0E
	v_cndmask_b32_e64 v49, v49, 0, s[40:41]                    // 000000003558: D1000031 00A10131
	v_mov_b32_e32 v14, v15                                     // 000000003560: 7E1C030F
	v_mul_f32_e32 v49, s64, v49                                // 000000003564: 0A626240
	v_exp_f32_e32 v49, v49                                     // 000000003568: 7E624131
	s_waitcnt lgkmcnt(0)                                       // 00000000356C: BF8CC07F
	s_barrier                                                  // 000000003570: BF8A0000
	ds_read_b32 v64, v10 offset:5248                           // 000000003574: D86C1480 4000000A
	ds_read_b32 v65, v10 offset:5312                           // 00000000357C: D86C14C0 4100000A
	ds_read_b32 v66, v10 offset:5376                           // 000000003584: D86C1500 4200000A
	ds_read_b32 v67, v10 offset:5440                           // 00000000358C: D86C1540 4300000A
	ds_read_b32 v68, v10 offset:5504                           // 000000003594: D86C1580 4400000A
	ds_read_b32 v69, v10 offset:5568                           // 00000000359C: D86C15C0 4500000A
	ds_read_b32 v70, v10 offset:5632                           // 0000000035A4: D86C1600 4600000A
	ds_read_b32 v71, v10 offset:5696                           // 0000000035AC: D86C1640 4700000A
	ds_read_b32 v72, v10 offset:5760                           // 0000000035B4: D86C1680 4800000A
	ds_read_b32 v73, v10 offset:5824                           // 0000000035BC: D86C16C0 4900000A
	ds_read_b32 v74, v10 offset:5888                           // 0000000035C4: D86C1700 4A00000A
	ds_read_b32 v75, v10 offset:5952                           // 0000000035CC: D86C1740 4B00000A
	ds_read_b32 v76, v10 offset:6016                           // 0000000035D4: D86C1780 4C00000A
	ds_read_b32 v77, v10 offset:6080                           // 0000000035DC: D86C17C0 4D00000A
	ds_read_b32 v78, v10 offset:6144                           // 0000000035E4: D86C1800 4E00000A
	ds_read_b32 v79, v10 offset:6208                           // 0000000035EC: D86C1840 4F00000A
	v_mul_f32_e32 v42, v49, v42                                // 0000000035F4: 0A545531
	v_mov_b32_e32 v43, v88                                     // 0000000035F8: 7E560358
	v_add_f32_e32 v43, v89, v43                                // 0000000035FC: 02565759
	v_add_f32_e32 v43, v90, v43                                // 000000003600: 0256575A
	v_add_f32_e32 v43, v91, v43                                // 000000003604: 0256575B
	v_add_f32_e32 v43, v92, v43                                // 000000003608: 0256575C
	v_add_f32_e32 v43, v93, v43                                // 00000000360C: 0256575D
	v_add_f32_e32 v43, v94, v43                                // 000000003610: 0256575E
	v_add_f32_e32 v43, v95, v43                                // 000000003614: 0256575F
	v_add_f32_e32 v42, v43, v42                                // 000000003618: 0254552B
	s_waitcnt lgkmcnt(0)                                       // 00000000361C: BF8CC07F
	v_max3_f32 v48, |v64|, |v65|, v48                          // 000000003620: D1D30330 04C28340
	v_max3_f32 v48, |v66|, |v67|, v48                          // 000000003628: D1D30330 04C28742
	v_max3_f32 v48, |v68|, |v69|, v48                          // 000000003630: D1D30330 04C28B44
	v_max3_f32 v48, |v70|, |v71|, v48                          // 000000003638: D1D30330 04C28F46
	v_max3_f32 v48, |v72|, |v73|, v48                          // 000000003640: D1D30330 04C29348
	v_max3_f32 v48, |v74|, |v75|, v48                          // 000000003648: D1D30330 04C2974A
	v_max3_f32 v48, |v76|, |v77|, v48                          // 000000003650: D1D30330 04C29B4C
	v_max3_f32 v48, |v78|, |v79|, v48                          // 000000003658: D1D30330 04C29F4E
	s_nop 2                                                    // 000000003660: BF800002
	v_mov_b32_dpp v38, v48 row_ror:8 row_mask:0xf bank_mask:0xf// 000000003664: 7E4C02FA FF012830
	v_max_f32_e32 v48, v48, v38                                // 00000000366C: 16604D30
	v_rcp_f32_e32 v48, v48                                     // 000000003670: 7E604530
	s_nop 1                                                    // 000000003674: BF800001
	v_mul_f32_e32 v48, 0x42fe0000, v48                         // 000000003678: 0A6060FF 42FE0000
	v_mul_f32_e32 v88, v48, v116                               // 000000003680: 0AB0E930
	v_mul_f32_e32 v89, v48, v117                               // 000000003684: 0AB2EB30
	v_mul_f32_e32 v90, v48, v118                               // 000000003688: 0AB4ED30
	v_mul_f32_e32 v91, v48, v119                               // 00000000368C: 0AB6EF30
	v_mul_f32_e32 v92, v48, v120                               // 000000003690: 0AB8F130
	v_mul_f32_e32 v93, v48, v121                               // 000000003694: 0ABAF330
	v_mul_f32_e32 v94, v48, v122                               // 000000003698: 0ABCF530
	v_mul_f32_e32 v95, v48, v123                               // 00000000369C: 0ABEF730
	v_cvt_i32_f32_e32 v88, v88                                 // 0000000036A0: 7EB01158
	v_cvt_i32_f32_e32 v89, v89                                 // 0000000036A4: 7EB21159
	v_cvt_i32_f32_e32 v90, v90                                 // 0000000036A8: 7EB4115A
	v_cvt_i32_f32_e32 v91, v91                                 // 0000000036AC: 7EB6115B
	v_cvt_i32_f32_e32 v92, v92                                 // 0000000036B0: 7EB8115C
	v_cvt_i32_f32_e32 v93, v93                                 // 0000000036B4: 7EBA115D
	v_cvt_i32_f32_e32 v94, v94                                 // 0000000036B8: 7EBC115E
	v_cvt_i32_f32_e32 v95, v95                                 // 0000000036BC: 7EBE115F
	v_perm_b32 v88, v89, v88, s53                              // 0000000036C0: D1ED0058 00D6B159
	v_perm_b32 v88, v90, v88, s54                              // 0000000036C8: D1ED0058 00DAB15A
	v_perm_b32 v88, v91, v88, s55                              // 0000000036D0: D1ED0058 00DEB15B
	v_perm_b32 v89, v93, v92, s53                              // 0000000036D8: D1ED0059 00D6B95D
	v_perm_b32 v89, v94, v89, s54                              // 0000000036E0: D1ED0059 00DAB35E
	v_perm_b32 v89, v95, v89, s55                              // 0000000036E8: D1ED0059 00DEB35F
	ds_write_b32 v13, v88 offset:6272                          // 0000000036F0: D81A1880 0000580D
	ds_write_b32 v13, v89 offset:7296                          // 0000000036F8: D81A1C80 0000590D
	v_cvt_f32_i32_e32 v104, v104                               // 000000003700: 7ED00B68
	v_cvt_f32_i32_e32 v105, v105                               // 000000003704: 7ED20B69
	v_cvt_f32_i32_e32 v106, v106                               // 000000003708: 7ED40B6A
	v_cvt_f32_i32_e32 v107, v107                               // 00000000370C: 7ED60B6B
	v_mul_f32_e32 v104, v47, v104                              // 000000003710: 0AD0D12F
	v_mul_f32_e32 v105, v47, v105                              // 000000003714: 0AD2D32F
	v_mul_f32_e32 v106, v47, v106                              // 000000003718: 0AD4D52F
	v_mul_f32_e32 v107, v47, v107                              // 00000000371C: 0AD6D72F
	v_rcp_f32_e32 v47, v48                                     // 000000003720: 7E5E4530
	s_waitcnt lgkmcnt(0)                                       // 000000003724: BF8CC07F
	s_barrier                                                  // 000000003728: BF8A0000
	ds_read_b64 v[88:89], v12 offset:6272                      // 00000000372C: D8EC1880 5800000C
	ds_read_b64 v[90:91], v12 offset:6400                      // 000000003734: D8EC1900 5A00000C
	ds_read_b64 v[92:93], v12 offset:7296                      // 00000000373C: D8EC1C80 5C00000C
	ds_read_b64 v[94:95], v12 offset:7424                      // 000000003744: D8EC1D00 5E00000C
	v_add_f32_e32 v112, v112, v104                             // 00000000374C: 02E0D170
	v_add_f32_e32 v113, v113, v105                             // 000000003750: 02E2D371
	v_add_f32_e32 v114, v114, v106                             // 000000003754: 02E4D572
	v_add_f32_e32 v115, v115, v107                             // 000000003758: 02E6D773
	s_waitcnt lgkmcnt(3)                                       // 00000000375C: BF8CC37F
	v_mov_b32_dpp v96, v88 row_shl:8 row_mask:0xf bank_mask:0xf bound_ctrl:1// 000000003760: 7EC002FA FF090858
	v_and_b32_e32 v88, v88, v9                                 // 000000003768: 26B01358
	v_mov_b32_dpp v97, v89 row_shl:8 row_mask:0xf bank_mask:0xf bound_ctrl:1// 00000000376C: 7EC202FA FF090859
	v_and_b32_e32 v89, v89, v9                                 // 000000003774: 26B21359
	s_waitcnt lgkmcnt(2)                                       // 000000003778: BF8CC27F
	v_mov_b32_dpp v98, v90 row_shl:8 row_mask:0xf bank_mask:0xf bound_ctrl:1// 00000000377C: 7EC402FA FF09085A
	v_and_b32_e32 v90, v90, v9                                 // 000000003784: 26B4135A
	v_mov_b32_dpp v99, v91 row_shl:8 row_mask:0xf bank_mask:0xf bound_ctrl:1// 000000003788: 7EC602FA FF09085B
	v_and_b32_e32 v91, v91, v9                                 // 000000003790: 26B6135B
	s_waitcnt lgkmcnt(1)                                       // 000000003794: BF8CC17F
	v_mov_b32_dpp v100, v92 row_shl:8 row_mask:0xf bank_mask:0xf bound_ctrl:1// 000000003798: 7EC802FA FF09085C
	v_and_b32_e32 v92, v92, v9                                 // 0000000037A0: 26B8135C
	v_mov_b32_dpp v101, v93 row_shl:8 row_mask:0xf bank_mask:0xf bound_ctrl:1// 0000000037A4: 7ECA02FA FF09085D
	v_and_b32_e32 v93, v93, v9                                 // 0000000037AC: 26BA135D
	s_waitcnt lgkmcnt(0)                                       // 0000000037B0: BF8CC07F
	v_mov_b32_dpp v102, v94 row_shl:8 row_mask:0xf bank_mask:0xf bound_ctrl:1// 0000000037B4: 7ECC02FA FF09085E
	v_and_b32_e32 v94, v94, v9                                 // 0000000037BC: 26BC135E
	v_mov_b32_dpp v103, v95 row_shl:8 row_mask:0xf bank_mask:0xf bound_ctrl:1// 0000000037C0: 7ECE02FA FF09085F
	v_and_b32_e32 v95, v95, v9                                 // 0000000037C8: 26BE135F
	s_waitcnt vmcnt(15)                                        // 0000000037CC: BF8C0F7F
	v_mfma_i32_16x16x32_i8 v[104:107], a[96:97], v[88:89], 0   // 0000000037D0: D3D70068 0A02B160
	v_mfma_i32_16x16x32_i8 v[104:107], a[98:99], v[90:91], v[104:107]// 0000000037D8: D3D70068 0DA2B562
	buffer_load_dwordx4 a[80:83], v30, s[20:23], 0 offen offset:1024// 0000000037E0: E05C1400 8085501E
	v_mfma_i32_16x16x32_i8 v[104:107], a[100:101], v[92:93], v[104:107]// 0000000037E8: D3D70068 0DA2B964
	v_mfma_i32_16x16x32_i8 v[104:107], a[102:103], v[94:95], v[104:107]// 0000000037F0: D3D70068 0DA2BD66
	v_mfma_i32_16x16x32_i8 v[104:107], a[104:105], v[96:97], v[104:107]// 0000000037F8: D3D70068 0DA2C168
	v_mfma_i32_16x16x32_i8 v[104:107], a[106:107], v[98:99], v[104:107]// 000000003800: D3D70068 0DA2C56A
	buffer_load_dwordx4 a[84:87], v31, s[20:23], 0 offen offset:1024// 000000003808: E05C1400 8085541F
	v_mfma_i32_16x16x32_i8 v[104:107], a[108:109], v[100:101], v[104:107]// 000000003810: D3D70068 0DA2C96C
	v_mfma_i32_16x16x32_i8 v[104:107], a[110:111], v[102:103], v[104:107]// 000000003818: D3D70068 0DA2CD6E
	v_mfma_i32_16x16x32_i8 v[108:111], a[112:113], v[88:89], 0 // 000000003820: D3D7006C 0A02B170
	v_mfma_i32_16x16x32_i8 v[108:111], a[114:115], v[90:91], v[108:111]// 000000003828: D3D7006C 0DB2B572
	buffer_load_dwordx4 a[88:91], v32, s[20:23], 0 offen offset:1024// 000000003830: E05C1400 80855820
	v_mfma_i32_16x16x32_i8 v[108:111], a[116:117], v[92:93], v[108:111]// 000000003838: D3D7006C 0DB2B974
	v_mfma_i32_16x16x32_i8 v[108:111], a[118:119], v[94:95], v[108:111]// 000000003840: D3D7006C 0DB2BD76
	v_mfma_i32_16x16x32_i8 v[108:111], a[120:121], v[96:97], v[108:111]// 000000003848: D3D7006C 0DB2C178
	v_mfma_i32_16x16x32_i8 v[108:111], a[122:123], v[98:99], v[108:111]// 000000003850: D3D7006C 0DB2C57A
	buffer_load_dwordx4 a[92:95], v33, s[20:23], 0 offen offset:1024// 000000003858: E05C1400 80855C21
	v_mfma_i32_16x16x32_i8 v[108:111], a[124:125], v[100:101], v[108:111]// 000000003860: D3D7006C 0DB2C97C
	s_lshr_b32 s57, s70, 4                                     // 000000003868: 8F398446
	s_add_u32 s57, 48, s57                                     // 00000000386C: 803939B0
	v_mfma_i32_16x16x32_i8 v[108:111], a[126:127], v[102:103], v[108:111]// 000000003870: D3D7006C 0DB2CD7E
	s_cmp_ge_u32 s57, s73                                      // 000000003878: BF094939
	s_cselect_b32 s56, 0, s56                                  // 00000000387C: 85383880
	v_add_u32_e32 v1, s56, v1                                  // 000000003880: 68020238
	s_addk_i32 s70, 0x100                                      // 000000003884: B7460100
	s_cmp_lt_i32 s70, s71                                      // 000000003888: BF044746
	s_cbranch_scc0 label_05E5                                  // 00000000388C: BF840001
	s_branch label_0200                                        // 000000003890: BF82FC1B

0000000000003894 <label_05E5>:
	s_nop 0                                                    // 000000003894: BF800000
	s_nop 0                                                    // 000000003898: BF800000
	s_branch label_09CD                                        // 00000000389C: BF8203E5

00000000000038a0 <label_05E8>:
	s_waitcnt vmcnt(8) lgkmcnt(0)                              // 0000000038A0: BF8C0078
	v_mul_u32_u24_dpp v38, v17, v51 row_newbcast:0 row_mask:0xf bank_mask:0xf// 0000000038A4: 104C66FA FF015011
	v_mul_u32_u24_dpp v39, v17, v51 row_newbcast:4 row_mask:0xf bank_mask:0xf// 0000000038AC: 104E66FA FF015411
	v_mul_u32_u24_dpp v40, v17, v51 row_newbcast:8 row_mask:0xf bank_mask:0xf// 0000000038B4: 105066FA FF015811
	v_mul_u32_u24_dpp v41, v17, v51 row_newbcast:12 row_mask:0xf bank_mask:0xf// 0000000038BC: 105266FA FF015C11
	v_add_u32_e32 v26, v38, v6                                 // 0000000038C4: 68340D26
	v_add_u32_e32 v27, v39, v6                                 // 0000000038C8: 68360D27
	v_add_u32_e32 v28, v40, v6                                 // 0000000038CC: 68380D28
	v_add_u32_e32 v29, v41, v6                                 // 0000000038D0: 683A0D29
	v_mul_u32_u24_dpp v38, v17, v61 quad_perm:[0,0,0,0] row_mask:0xf bank_mask:0xf// 0000000038D4: 104C7AFA FF000011
	v_add_u32_e32 v3, v38, v57                                 // 0000000038DC: 68067326
	v_mul_u32_u24_dpp v38, v17, v61 quad_perm:[0,0,0,0] row_mask:0xf bank_mask:0xf// 0000000038E0: 104C7AFA FF000011
	v_add_u32_e32 v54, v38, v58                                // 0000000038E8: 686C7526
	v_mfma_i32_16x16x32_i8 v[88:91], a[0:1], v[80:81], 0       // 0000000038EC: D3D70058 0A02A100
	buffer_load_dwordx4 a[32:35], v26, s[16:19], 0 offen       // 0000000038F4: E05C1000 8084201A
	v_mfma_i32_16x16x32_i8 v[88:91], a[2:3], v[82:83], v[88:91]// 0000000038FC: D3D70058 0D62A502
	v_mfma_i32_16x16x32_i8 v[88:91], a[4:5], v[84:85], v[88:91]// 000000003904: D3D70058 0D62A904
	buffer_load_dword v16, v1, s[24:27], 0 offen               // 00000000390C: E0501000 80061001
	v_mfma_i32_16x16x32_i8 v[88:91], a[6:7], v[86:87], v[88:91]// 000000003914: D3D70058 0D62AD06
	v_mfma_i32_16x16x32_i8 v[92:95], a[8:9], v[80:81], 0       // 00000000391C: D3D7005C 0A02A108
	buffer_load_dwordx4 a[36:39], v26, s[16:19], 0 offen offset:1024// 000000003924: E05C1400 8084241A
	v_mfma_i32_16x16x32_i8 v[92:95], a[10:11], v[82:83], v[92:95]// 00000000392C: D3D7005C 0D72A50A
	v_mfma_i32_16x16x32_i8 v[92:95], a[12:13], v[84:85], v[92:95]// 000000003934: D3D7005C 0D72A90C
	v_mfma_i32_16x16x32_i8 v[92:95], a[14:15], v[86:87], v[92:95]// 00000000393C: D3D7005C 0D72AD0E
	v_mfma_i32_16x16x32_i8 v[96:99], a[16:17], v[80:81], 0     // 000000003944: D3D70060 0A02A110
	buffer_load_dwordx4 a[40:43], v27, s[16:19], 0 offen       // 00000000394C: E05C1000 8084281B
	v_mfma_i32_16x16x32_i8 v[96:99], a[18:19], v[82:83], v[96:99]// 000000003954: D3D70060 0D82A512
	v_mfma_i32_16x16x32_i8 v[96:99], a[20:21], v[84:85], v[96:99]// 00000000395C: D3D70060 0D82A914
	v_mfma_i32_16x16x32_i8 v[96:99], a[22:23], v[86:87], v[96:99]// 000000003964: D3D70060 0D82AD16
	v_mfma_i32_16x16x32_i8 v[100:103], a[24:25], v[80:81], 0   // 00000000396C: D3D70064 0A02A118
	buffer_load_dwordx4 a[44:47], v27, s[16:19], 0 offen offset:1024// 000000003974: E05C1400 80842C1B
	v_mfma_i32_16x16x32_i8 v[100:103], a[26:27], v[82:83], v[100:103]// 00000000397C: D3D70064 0D92A51A
	v_mfma_i32_16x16x32_i8 v[100:103], a[28:29], v[84:85], v[100:103]// 000000003984: D3D70064 0D92A91C
	v_mfma_i32_16x16x32_i8 v[100:103], a[30:31], v[86:87], v[100:103]// 00000000398C: D3D70064 0D92AD1E
	buffer_load_dword v45, v3, s[32:35], 0 offen               // 000000003994: E0501000 80082D03
	v_mov_b32_dpp v38, v44 row_shr:4 row_mask:0xf bank_mask:0xf// 00000000399C: 7E4C02FA FF01142C
	v_mov_b32_dpp v39, v44 row_shl:4 row_mask:0xf bank_mask:0xf// 0000000039A4: 7E4E02FA FF01042C
	v_cndmask_b32_e64 v124, v44, v38, s[44:45]                 // 0000000039AC: D100007C 00B24D2C
	v_cndmask_b32_e64 v125, v39, v44, s[44:45]                 // 0000000039B4: D100007D 00B25927
	v_mov_b32_dpp v38, v55 row_shr:4 row_mask:0xf bank_mask:0xf// 0000000039BC: 7E4C02FA FF011437
	v_mov_b32_dpp v39, v55 row_shl:4 row_mask:0xf bank_mask:0xf// 0000000039C4: 7E4E02FA FF010437
	v_cndmask_b32_e64 v126, v55, v38, s[44:45]                 // 0000000039CC: D100007E 00B24D37
	v_cndmask_b32_e64 v127, v39, v55, s[44:45]                 // 0000000039D4: D100007F 00B26F27
	v_or_b32_dpp v88, v96, v88 row_shr:8 row_mask:0xf bank_mask:0xf bound_ctrl:1// 0000000039DC: 28B0B0FA FF091860
	v_or_b32_dpp v89, v97, v89 row_shr:8 row_mask:0xf bank_mask:0xf bound_ctrl:1// 0000000039E4: 28B2B2FA FF091861
	v_or_b32_dpp v90, v98, v90 row_shr:8 row_mask:0xf bank_mask:0xf bound_ctrl:1// 0000000039EC: 28B4B4FA FF091862
	v_or_b32_dpp v91, v99, v91 row_shr:8 row_mask:0xf bank_mask:0xf bound_ctrl:1// 0000000039F4: 28B6B6FA FF091863
	v_or_b32_dpp v92, v100, v92 row_shr:8 row_mask:0xf bank_mask:0xf bound_ctrl:1// 0000000039FC: 28B8B8FA FF091864
	v_or_b32_dpp v93, v101, v93 row_shr:8 row_mask:0xf bank_mask:0xf bound_ctrl:1// 000000003A04: 28BABAFA FF091865
	v_or_b32_dpp v94, v102, v94 row_shr:8 row_mask:0xf bank_mask:0xf bound_ctrl:1// 000000003A0C: 28BCBCFA FF091866
	v_or_b32_dpp v95, v103, v95 row_shr:8 row_mask:0xf bank_mask:0xf bound_ctrl:1// 000000003A14: 28BEBEFA FF091867
	buffer_load_dword v56, v54, s[36:39], 0 offen              // 000000003A1C: E0501000 80093836
	v_cvt_f32_i32_e32 v88, v88                                 // 000000003A24: 7EB00B58
	v_cvt_f32_i32_e32 v89, v89                                 // 000000003A28: 7EB20B59
	v_cvt_f32_i32_e32 v90, v90                                 // 000000003A2C: 7EB40B5A
	v_cvt_f32_i32_e32 v91, v91                                 // 000000003A30: 7EB60B5B
	v_cvt_f32_i32_e32 v92, v92                                 // 000000003A34: 7EB80B5C
	v_cvt_f32_i32_e32 v93, v93                                 // 000000003A38: 7EBA0B5D
	v_cvt_f32_i32_e32 v94, v94                                 // 000000003A3C: 7EBC0B5E
	v_cvt_f32_i32_e32 v95, v95                                 // 000000003A40: 7EBE0B5F
	v_mul_f32_e32 v88, v46, v88                                // 000000003A44: 0AB0B12E
	v_mul_f32_e32 v89, v46, v89                                // 000000003A48: 0AB2B32E
	v_mul_f32_e32 v90, v46, v90                                // 000000003A4C: 0AB4B52E
	v_mul_f32_e32 v91, v46, v91                                // 000000003A50: 0AB6B72E
	v_mul_f32_e32 v92, v46, v92                                // 000000003A54: 0AB8B92E
	v_mul_f32_e32 v93, v46, v93                                // 000000003A58: 0ABABB2E
	v_mul_f32_e32 v94, v46, v94                                // 000000003A5C: 0ABCBD2E
	v_mul_f32_e32 v95, v46, v95                                // 000000003A60: 0ABEBF2E
	buffer_load_dwordx4 a[48:51], v28, s[16:19], 0 offen       // 000000003A64: E05C1000 8084301C
	v_mul_f32_dpp v88, v124, v88 quad_perm:[0,0,0,0] row_mask:0xf bank_mask:0xf// 000000003A6C: 0AB0B0FA FF00007C
	v_mul_f32_dpp v89, v124, v89 quad_perm:[1,1,1,1] row_mask:0xf bank_mask:0xf// 000000003A74: 0AB2B2FA FF00557C
	v_mul_f32_dpp v90, v124, v90 quad_perm:[2,2,2,2] row_mask:0xf bank_mask:0xf// 000000003A7C: 0AB4B4FA FF00AA7C
	v_mul_f32_dpp v91, v124, v91 quad_perm:[3,3,3,3] row_mask:0xf bank_mask:0xf// 000000003A84: 0AB6B6FA FF00FF7C
	v_mul_f32_dpp v92, v125, v92 quad_perm:[0,0,0,0] row_mask:0xf bank_mask:0xf// 000000003A8C: 0AB8B8FA FF00007D
	v_mul_f32_dpp v93, v125, v93 quad_perm:[1,1,1,1] row_mask:0xf bank_mask:0xf// 000000003A94: 0ABABAFA FF00557D
	v_mul_f32_dpp v94, v125, v94 quad_perm:[2,2,2,2] row_mask:0xf bank_mask:0xf// 000000003A9C: 0ABCBCFA FF00AA7D
	v_mul_f32_dpp v95, v125, v95 quad_perm:[3,3,3,3] row_mask:0xf bank_mask:0xf// 000000003AA4: 0ABEBEFA FF00FF7D
	buffer_load_dwordx4 a[52:55], v28, s[16:19], 0 offen offset:1024// 000000003AAC: E05C1400 8084341C
	v_mov_b32_e32 v48, v88                                     // 000000003AB4: 7E600358
	v_max3_f32 v48, v88, v89, v48                              // 000000003AB8: D1D30030 04C2B358
	v_max3_f32 v48, v90, v91, v48                              // 000000003AC0: D1D30030 04C2B75A
	v_max3_f32 v48, v92, v93, v48                              // 000000003AC8: D1D30030 04C2BB5C
	v_max3_f32 v48, v94, v95, v48                              // 000000003AD0: D1D30030 04C2BF5E
	ds_write_b32 v11, v48 offset:4224                          // 000000003AD8: D81A1080 0000300B
	buffer_load_dwordx4 a[56:59], v29, s[16:19], 0 offen       // 000000003AE0: E05C1000 8084381D
	v_mul_u32_u24_dpp v38, v17, v51 row_newbcast:1 row_mask:0xf bank_mask:0xf// 000000003AE8: 104C66FA FF015111
	v_mul_u32_u24_dpp v39, v17, v51 row_newbcast:5 row_mask:0xf bank_mask:0xf// 000000003AF0: 104E66FA FF015511
	v_mul_u32_u24_dpp v40, v17, v51 row_newbcast:9 row_mask:0xf bank_mask:0xf// 000000003AF8: 105066FA FF015911
	v_mul_u32_u24_dpp v41, v17, v51 row_newbcast:13 row_mask:0xf bank_mask:0xf// 000000003B00: 105266FA FF015D11
	v_add_u32_e32 v34, v38, v7                                 // 000000003B08: 68440F26
	v_add_u32_e32 v35, v39, v7                                 // 000000003B0C: 68460F27
	v_add_u32_e32 v36, v40, v7                                 // 000000003B10: 68480F28
	v_add_u32_e32 v37, v41, v7                                 // 000000003B14: 684A0F29
	s_waitcnt lgkmcnt(0)                                       // 000000003B18: BF8CC07F
	s_barrier                                                  // 000000003B1C: BF8A0000
	ds_read_b32 v64, v10 offset:4224                           // 000000003B20: D86C1080 4000000A
	ds_read_b32 v65, v10 offset:4288                           // 000000003B28: D86C10C0 4100000A
	ds_read_b32 v66, v10 offset:4352                           // 000000003B30: D86C1100 4200000A
	ds_read_b32 v67, v10 offset:4416                           // 000000003B38: D86C1140 4300000A
	ds_read_b32 v68, v10 offset:4480                           // 000000003B40: D86C1180 4400000A
	ds_read_b32 v69, v10 offset:4544                           // 000000003B48: D86C11C0 4500000A
	ds_read_b32 v70, v10 offset:4608                           // 000000003B50: D86C1200 4600000A
	ds_read_b32 v71, v10 offset:4672                           // 000000003B58: D86C1240 4700000A
	ds_read_b32 v72, v10 offset:4736                           // 000000003B60: D86C1280 4800000A
	ds_read_b32 v73, v10 offset:4800                           // 000000003B68: D86C12C0 4900000A
	ds_read_b32 v74, v10 offset:4864                           // 000000003B70: D86C1300 4A00000A
	ds_read_b32 v75, v10 offset:4928                           // 000000003B78: D86C1340 4B00000A
	ds_read_b32 v76, v10 offset:4992                           // 000000003B80: D86C1380 4C00000A
	ds_read_b32 v77, v10 offset:5056                           // 000000003B88: D86C13C0 4D00000A
	ds_read_b32 v78, v10 offset:5120                           // 000000003B90: D86C1400 4E00000A
	ds_read_b32 v79, v10 offset:5184                           // 000000003B98: D86C1440 4F00000A
	buffer_load_dwordx4 a[60:63], v29, s[16:19], 0 offen offset:1024// 000000003BA0: E05C1400 80843C1D
	v_mul_f32_e32 v112, v49, v112                              // 000000003BA8: 0AE0E131
	v_mul_f32_e32 v113, v49, v113                              // 000000003BAC: 0AE2E331
	v_mul_f32_e32 v114, v49, v114                              // 000000003BB0: 0AE4E531
	v_mul_f32_e32 v115, v49, v115                              // 000000003BB4: 0AE6E731
	v_or_b32_dpp v104, v108, v104 row_shr:8 row_mask:0xf bank_mask:0xf bound_ctrl:1// 000000003BB8: 28D0D0FA FF09186C
	v_or_b32_dpp v105, v109, v105 row_shr:8 row_mask:0xf bank_mask:0xf bound_ctrl:1// 000000003BC0: 28D2D2FA FF09186D
	v_or_b32_dpp v106, v110, v106 row_shr:8 row_mask:0xf bank_mask:0xf bound_ctrl:1// 000000003BC8: 28D4D4FA FF09186E
	v_or_b32_dpp v107, v111, v107 row_shr:8 row_mask:0xf bank_mask:0xf bound_ctrl:1// 000000003BD0: 28D6D6FA FF09186F
	s_waitcnt lgkmcnt(0)                                       // 000000003BD8: BF8CC07F
	v_max3_f32 v48, v64, v65, v48                              // 000000003BDC: D1D30030 04C28340
	v_max3_f32 v48, v66, v67, v48                              // 000000003BE4: D1D30030 04C28742
	v_max3_f32 v48, v68, v69, v48                              // 000000003BEC: D1D30030 04C28B44
	v_max3_f32 v48, v70, v71, v48                              // 000000003BF4: D1D30030 04C28F46
	v_max3_f32 v48, v72, v73, v48                              // 000000003BFC: D1D30030 04C29348
	v_max3_f32 v48, v74, v75, v48                              // 000000003C04: D1D30030 04C2974A
	v_max3_f32 v48, v76, v77, v48                              // 000000003C0C: D1D30030 04C29B4C
	v_max3_f32 v48, v78, v79, v48                              // 000000003C14: D1D30030 04C29F4E
	buffer_load_dwordx4 a[96:99], v34, s[20:23], 0 offen       // 000000003C1C: E05C1000 80856022
	v_cmp_eq_u32_e64 s[40:41], v52, v14                        // 000000003C24: D0CA0028 00021D34
	s_nop 1                                                    // 000000003C2C: BF800001
	v_mov_b32_dpp v38, v48 row_ror:8 row_mask:0xf bank_mask:0xf// 000000003C30: 7E4C02FA FF012830
	v_max_f32_e32 v48, v48, v38                                // 000000003C38: 16604D30
	v_max_f32_e32 v15, v48, v14                                // 000000003C3C: 161E1D30
	v_mul_f32_e32 v50, s64, v15                                // 000000003C40: 0A641E40
	v_fma_f32 v88, v88, s64, -v50                              // 000000003C44: D1CB0058 84C88158
	v_fma_f32 v89, v89, s64, -v50                              // 000000003C4C: D1CB0059 84C88159
	v_fma_f32 v90, v90, s64, -v50                              // 000000003C54: D1CB005A 84C8815A
	v_fma_f32 v91, v91, s64, -v50                              // 000000003C5C: D1CB005B 84C8815B
	v_fma_f32 v92, v92, s64, -v50                              // 000000003C64: D1CB005C 84C8815C
	v_fma_f32 v93, v93, s64, -v50                              // 000000003C6C: D1CB005D 84C8815D
	v_fma_f32 v94, v94, s64, -v50                              // 000000003C74: D1CB005E 84C8815E
	v_fma_f32 v95, v95, s64, -v50                              // 000000003C7C: D1CB005F 84C8815F
	buffer_load_dwordx4 a[100:103], v35, s[20:23], 0 offen     // 000000003C84: E05C1000 80856423
	v_exp_f32_e32 v88, v88                                     // 000000003C8C: 7EB04158
	v_exp_f32_e32 v89, v89                                     // 000000003C90: 7EB24159
	v_exp_f32_e32 v90, v90                                     // 000000003C94: 7EB4415A
	v_exp_f32_e32 v91, v91                                     // 000000003C98: 7EB6415B
	v_exp_f32_e32 v92, v92                                     // 000000003C9C: 7EB8415C
	v_exp_f32_e32 v93, v93                                     // 000000003CA0: 7EBA415D
	v_exp_f32_e32 v94, v94                                     // 000000003CA4: 7EBC415E
	v_exp_f32_e32 v95, v95                                     // 000000003CA8: 7EBE415F
	buffer_load_dwordx4 a[104:107], v36, s[20:23], 0 offen     // 000000003CAC: E05C1000 80856824
	v_mul_f32_dpp v116, v126, v88 quad_perm:[0,0,0,0] row_mask:0xf bank_mask:0xf// 000000003CB4: 0AE8B0FA FF00007E
	v_mul_f32_dpp v117, v126, v89 quad_perm:[1,1,1,1] row_mask:0xf bank_mask:0xf// 000000003CBC: 0AEAB2FA FF00557E
	v_mul_f32_dpp v118, v126, v90 quad_perm:[2,2,2,2] row_mask:0xf bank_mask:0xf// 000000003CC4: 0AECB4FA FF00AA7E
	v_mul_f32_dpp v119, v126, v91 quad_perm:[3,3,3,3] row_mask:0xf bank_mask:0xf// 000000003CCC: 0AEEB6FA FF00FF7E
	v_mul_f32_dpp v120, v127, v92 quad_perm:[0,0,0,0] row_mask:0xf bank_mask:0xf// 000000003CD4: 0AF0B8FA FF00007F
	v_mul_f32_dpp v121, v127, v93 quad_perm:[1,1,1,1] row_mask:0xf bank_mask:0xf// 000000003CDC: 0AF2BAFA FF00557F
	v_mul_f32_dpp v122, v127, v94 quad_perm:[2,2,2,2] row_mask:0xf bank_mask:0xf// 000000003CE4: 0AF4BCFA FF00AA7F
	v_mul_f32_dpp v123, v127, v95 quad_perm:[3,3,3,3] row_mask:0xf bank_mask:0xf// 000000003CEC: 0AF6BEFA FF00FF7F
	v_mov_b32_e32 v48, 0x358637bd                              // 000000003CF4: 7E6002FF 358637BD
	v_max3_f32 v48, |v116|, |v117|, v48                        // 000000003CFC: D1D30330 04C2EB74
	v_max3_f32 v48, |v118|, |v119|, v48                        // 000000003D04: D1D30330 04C2EF76
	v_max3_f32 v48, |v120|, |v121|, v48                        // 000000003D0C: D1D30330 04C2F378
	v_max3_f32 v48, |v122|, |v123|, v48                        // 000000003D14: D1D30330 04C2F77A
	buffer_load_dwordx4 a[108:111], v37, s[20:23], 0 offen     // 000000003D1C: E05C1000 80856C25
	ds_write_b32 v11, v48 offset:5248                          // 000000003D24: D81A1480 0000300B
	v_sub_f32_e32 v49, v14, v15                                // 000000003D2C: 04621F0E
	v_cndmask_b32_e64 v49, v49, 0, s[40:41]                    // 000000003D30: D1000031 00A10131
	v_mov_b32_e32 v14, v15                                     // 000000003D38: 7E1C030F
	v_mul_f32_e32 v49, s64, v49                                // 000000003D3C: 0A626240
	v_exp_f32_e32 v49, v49                                     // 000000003D40: 7E624131
	s_waitcnt lgkmcnt(0)                                       // 000000003D44: BF8CC07F
	s_barrier                                                  // 000000003D48: BF8A0000
	ds_read_b32 v64, v10 offset:5248                           // 000000003D4C: D86C1480 4000000A
	ds_read_b32 v65, v10 offset:5312                           // 000000003D54: D86C14C0 4100000A
	ds_read_b32 v66, v10 offset:5376                           // 000000003D5C: D86C1500 4200000A
	ds_read_b32 v67, v10 offset:5440                           // 000000003D64: D86C1540 4300000A
	ds_read_b32 v68, v10 offset:5504                           // 000000003D6C: D86C1580 4400000A
	ds_read_b32 v69, v10 offset:5568                           // 000000003D74: D86C15C0 4500000A
	ds_read_b32 v70, v10 offset:5632                           // 000000003D7C: D86C1600 4600000A
	ds_read_b32 v71, v10 offset:5696                           // 000000003D84: D86C1640 4700000A
	ds_read_b32 v72, v10 offset:5760                           // 000000003D8C: D86C1680 4800000A
	ds_read_b32 v73, v10 offset:5824                           // 000000003D94: D86C16C0 4900000A
	ds_read_b32 v74, v10 offset:5888                           // 000000003D9C: D86C1700 4A00000A
	ds_read_b32 v75, v10 offset:5952                           // 000000003DA4: D86C1740 4B00000A
	ds_read_b32 v76, v10 offset:6016                           // 000000003DAC: D86C1780 4C00000A
	ds_read_b32 v77, v10 offset:6080                           // 000000003DB4: D86C17C0 4D00000A
	ds_read_b32 v78, v10 offset:6144                           // 000000003DBC: D86C1800 4E00000A
	ds_read_b32 v79, v10 offset:6208                           // 000000003DC4: D86C1840 4F00000A
	v_mul_f32_e32 v42, v49, v42                                // 000000003DCC: 0A545531
	v_mov_b32_e32 v43, v88                                     // 000000003DD0: 7E560358
	v_add_f32_e32 v43, v89, v43                                // 000000003DD4: 02565759
	v_add_f32_e32 v43, v90, v43                                // 000000003DD8: 0256575A
	v_add_f32_e32 v43, v91, v43                                // 000000003DDC: 0256575B
	v_add_f32_e32 v43, v92, v43                                // 000000003DE0: 0256575C
	v_add_f32_e32 v43, v93, v43                                // 000000003DE4: 0256575D
	v_add_f32_e32 v43, v94, v43                                // 000000003DE8: 0256575E
	v_add_f32_e32 v43, v95, v43                                // 000000003DEC: 0256575F
	v_add_f32_e32 v42, v43, v42                                // 000000003DF0: 0254552B
	s_waitcnt lgkmcnt(0)                                       // 000000003DF4: BF8CC07F
	v_max3_f32 v48, |v64|, |v65|, v48                          // 000000003DF8: D1D30330 04C28340
	v_max3_f32 v48, |v66|, |v67|, v48                          // 000000003E00: D1D30330 04C28742
	v_max3_f32 v48, |v68|, |v69|, v48                          // 000000003E08: D1D30330 04C28B44
	v_max3_f32 v48, |v70|, |v71|, v48                          // 000000003E10: D1D30330 04C28F46
	v_max3_f32 v48, |v72|, |v73|, v48                          // 000000003E18: D1D30330 04C29348
	v_max3_f32 v48, |v74|, |v75|, v48                          // 000000003E20: D1D30330 04C2974A
	v_max3_f32 v48, |v76|, |v77|, v48                          // 000000003E28: D1D30330 04C29B4C
	v_max3_f32 v48, |v78|, |v79|, v48                          // 000000003E30: D1D30330 04C29F4E
	s_nop 2                                                    // 000000003E38: BF800002
	v_mov_b32_dpp v38, v48 row_ror:8 row_mask:0xf bank_mask:0xf// 000000003E3C: 7E4C02FA FF012830
	v_max_f32_e32 v48, v48, v38                                // 000000003E44: 16604D30
	v_rcp_f32_e32 v48, v48                                     // 000000003E48: 7E604530
	s_nop 1                                                    // 000000003E4C: BF800001
	v_mul_f32_e32 v48, 0x42fe0000, v48                         // 000000003E50: 0A6060FF 42FE0000
	v_mul_f32_e32 v88, v48, v116                               // 000000003E58: 0AB0E930
	v_mul_f32_e32 v89, v48, v117                               // 000000003E5C: 0AB2EB30
	v_mul_f32_e32 v90, v48, v118                               // 000000003E60: 0AB4ED30
	v_mul_f32_e32 v91, v48, v119                               // 000000003E64: 0AB6EF30
	v_mul_f32_e32 v92, v48, v120                               // 000000003E68: 0AB8F130
	v_mul_f32_e32 v93, v48, v121                               // 000000003E6C: 0ABAF330
	v_mul_f32_e32 v94, v48, v122                               // 000000003E70: 0ABCF530
	v_mul_f32_e32 v95, v48, v123                               // 000000003E74: 0ABEF730
	v_cvt_i32_f32_e32 v88, v88                                 // 000000003E78: 7EB01158
	v_cvt_i32_f32_e32 v89, v89                                 // 000000003E7C: 7EB21159
	v_cvt_i32_f32_e32 v90, v90                                 // 000000003E80: 7EB4115A
	v_cvt_i32_f32_e32 v91, v91                                 // 000000003E84: 7EB6115B
	v_cvt_i32_f32_e32 v92, v92                                 // 000000003E88: 7EB8115C
	v_cvt_i32_f32_e32 v93, v93                                 // 000000003E8C: 7EBA115D
	v_cvt_i32_f32_e32 v94, v94                                 // 000000003E90: 7EBC115E
	v_cvt_i32_f32_e32 v95, v95                                 // 000000003E94: 7EBE115F
	v_perm_b32 v88, v89, v88, s53                              // 000000003E98: D1ED0058 00D6B159
	v_perm_b32 v88, v90, v88, s54                              // 000000003EA0: D1ED0058 00DAB15A
	v_perm_b32 v88, v91, v88, s55                              // 000000003EA8: D1ED0058 00DEB15B
	v_perm_b32 v89, v93, v92, s53                              // 000000003EB0: D1ED0059 00D6B95D
	v_perm_b32 v89, v94, v89, s54                              // 000000003EB8: D1ED0059 00DAB35E
	v_perm_b32 v89, v95, v89, s55                              // 000000003EC0: D1ED0059 00DEB35F
	ds_write_b32 v13, v88 offset:6272                          // 000000003EC8: D81A1880 0000580D
	ds_write_b32 v13, v89 offset:7296                          // 000000003ED0: D81A1C80 0000590D
	v_cvt_f32_i32_e32 v104, v104                               // 000000003ED8: 7ED00B68
	v_cvt_f32_i32_e32 v105, v105                               // 000000003EDC: 7ED20B69
	v_cvt_f32_i32_e32 v106, v106                               // 000000003EE0: 7ED40B6A
	v_cvt_f32_i32_e32 v107, v107                               // 000000003EE4: 7ED60B6B
	v_mul_f32_e32 v104, v47, v104                              // 000000003EE8: 0AD0D12F
	v_mul_f32_e32 v105, v47, v105                              // 000000003EEC: 0AD2D32F
	v_mul_f32_e32 v106, v47, v106                              // 000000003EF0: 0AD4D52F
	v_mul_f32_e32 v107, v47, v107                              // 000000003EF4: 0AD6D72F
	v_rcp_f32_e32 v47, v48                                     // 000000003EF8: 7E5E4530
	s_waitcnt lgkmcnt(0)                                       // 000000003EFC: BF8CC07F
	s_barrier                                                  // 000000003F00: BF8A0000
	ds_read_b64 v[88:89], v12 offset:6272                      // 000000003F04: D8EC1880 5800000C
	ds_read_b64 v[90:91], v12 offset:6400                      // 000000003F0C: D8EC1900 5A00000C
	ds_read_b64 v[92:93], v12 offset:7296                      // 000000003F14: D8EC1C80 5C00000C
	ds_read_b64 v[94:95], v12 offset:7424                      // 000000003F1C: D8EC1D00 5E00000C
	v_add_f32_e32 v112, v112, v104                             // 000000003F24: 02E0D170
	v_add_f32_e32 v113, v113, v105                             // 000000003F28: 02E2D371
	v_add_f32_e32 v114, v114, v106                             // 000000003F2C: 02E4D572
	v_add_f32_e32 v115, v115, v107                             // 000000003F30: 02E6D773
	s_waitcnt lgkmcnt(3)                                       // 000000003F34: BF8CC37F
	v_mov_b32_dpp v96, v88 row_shl:8 row_mask:0xf bank_mask:0xf bound_ctrl:1// 000000003F38: 7EC002FA FF090858
	v_and_b32_e32 v88, v88, v9                                 // 000000003F40: 26B01358
	v_mov_b32_dpp v97, v89 row_shl:8 row_mask:0xf bank_mask:0xf bound_ctrl:1// 000000003F44: 7EC202FA FF090859
	v_and_b32_e32 v89, v89, v9                                 // 000000003F4C: 26B21359
	s_waitcnt lgkmcnt(2)                                       // 000000003F50: BF8CC27F
	v_mov_b32_dpp v98, v90 row_shl:8 row_mask:0xf bank_mask:0xf bound_ctrl:1// 000000003F54: 7EC402FA FF09085A
	v_and_b32_e32 v90, v90, v9                                 // 000000003F5C: 26B4135A
	v_mov_b32_dpp v99, v91 row_shl:8 row_mask:0xf bank_mask:0xf bound_ctrl:1// 000000003F60: 7EC602FA FF09085B
	v_and_b32_e32 v91, v91, v9                                 // 000000003F68: 26B6135B
	s_waitcnt lgkmcnt(1)                                       // 000000003F6C: BF8CC17F
	v_mov_b32_dpp v100, v92 row_shl:8 row_mask:0xf bank_mask:0xf bound_ctrl:1// 000000003F70: 7EC802FA FF09085C
	v_and_b32_e32 v92, v92, v9                                 // 000000003F78: 26B8135C
	v_mov_b32_dpp v101, v93 row_shl:8 row_mask:0xf bank_mask:0xf bound_ctrl:1// 000000003F7C: 7ECA02FA FF09085D
	v_and_b32_e32 v93, v93, v9                                 // 000000003F84: 26BA135D
	s_waitcnt lgkmcnt(0)                                       // 000000003F88: BF8CC07F
	v_mov_b32_dpp v102, v94 row_shl:8 row_mask:0xf bank_mask:0xf bound_ctrl:1// 000000003F8C: 7ECC02FA FF09085E
	v_and_b32_e32 v94, v94, v9                                 // 000000003F94: 26BC135E
	v_mov_b32_dpp v103, v95 row_shl:8 row_mask:0xf bank_mask:0xf bound_ctrl:1// 000000003F98: 7ECE02FA FF09085F
	v_and_b32_e32 v95, v95, v9                                 // 000000003FA0: 26BE135F
	s_waitcnt vmcnt(15)                                        // 000000003FA4: BF8C0F7F
	v_mfma_i32_16x16x32_i8 v[104:107], a[64:65], v[88:89], 0   // 000000003FA8: D3D70068 0A02B140
	buffer_load_dwordx4 a[112:115], v34, s[20:23], 0 offen offset:1024// 000000003FB0: E05C1400 80857022
	v_mfma_i32_16x16x32_i8 v[104:107], a[66:67], v[90:91], v[104:107]// 000000003FB8: D3D70068 0DA2B542
	v_mfma_i32_16x16x32_i8 v[104:107], a[68:69], v[92:93], v[104:107]// 000000003FC0: D3D70068 0DA2B944
	v_mfma_i32_16x16x32_i8 v[104:107], a[70:71], v[94:95], v[104:107]// 000000003FC8: D3D70068 0DA2BD46
	v_mfma_i32_16x16x32_i8 v[104:107], a[72:73], v[96:97], v[104:107]// 000000003FD0: D3D70068 0DA2C148
	buffer_load_dwordx4 a[116:119], v35, s[20:23], 0 offen offset:1024// 000000003FD8: E05C1400 80857423
	v_mfma_i32_16x16x32_i8 v[104:107], a[74:75], v[98:99], v[104:107]// 000000003FE0: D3D70068 0DA2C54A
	v_mfma_i32_16x16x32_i8 v[104:107], a[76:77], v[100:101], v[104:107]// 000000003FE8: D3D70068 0DA2C94C
	v_mfma_i32_16x16x32_i8 v[104:107], a[78:79], v[102:103], v[104:107]// 000000003FF0: D3D70068 0DA2CD4E
	v_mfma_i32_16x16x32_i8 v[108:111], a[80:81], v[88:89], 0   // 000000003FF8: D3D7006C 0A02B150
	buffer_load_dwordx4 a[120:123], v36, s[20:23], 0 offen offset:1024// 000000004000: E05C1400 80857824
	v_mfma_i32_16x16x32_i8 v[108:111], a[82:83], v[90:91], v[108:111]// 000000004008: D3D7006C 0DB2B552
	v_mfma_i32_16x16x32_i8 v[108:111], a[84:85], v[92:93], v[108:111]// 000000004010: D3D7006C 0DB2B954
	v_mfma_i32_16x16x32_i8 v[108:111], a[86:87], v[94:95], v[108:111]// 000000004018: D3D7006C 0DB2BD56
	v_mfma_i32_16x16x32_i8 v[108:111], a[88:89], v[96:97], v[108:111]// 000000004020: D3D7006C 0DB2C158
	buffer_load_dwordx4 a[124:127], v37, s[20:23], 0 offen offset:1024// 000000004028: E05C1400 80857C25
	v_mfma_i32_16x16x32_i8 v[108:111], a[90:91], v[98:99], v[108:111]// 000000004030: D3D7006C 0DB2C55A
	v_mfma_i32_16x16x32_i8 v[108:111], a[92:93], v[100:101], v[108:111]// 000000004038: D3D7006C 0DB2C95C
	s_lshr_b32 s57, s70, 4                                     // 000000004040: 8F398446
	s_add_u32 s57, 48, s57                                     // 000000004044: 803939B0
	v_mfma_i32_16x16x32_i8 v[108:111], a[94:95], v[102:103], v[108:111]// 000000004048: D3D7006C 0DB2CD5E
	s_cmp_ge_u32 s57, s73                                      // 000000004050: BF094939
	s_cselect_b32 s56, 0, s56                                  // 000000004054: 85383880
	v_add_u32_e32 v1, s56, v1                                  // 000000004058: 68020238
	s_addk_i32 s70, 0x100                                      // 00000000405C: B7460100
	s_cmp_lt_i32 s70, s71                                      // 000000004060: BF044746
	s_cbranch_scc0 label_05E5                                  // 000000004064: BF84FE0B
	s_waitcnt vmcnt(8) lgkmcnt(0)                              // 000000004068: BF8C0078
	v_mul_u32_u24_dpp v38, v16, v51 row_newbcast:0 row_mask:0xf bank_mask:0xf// 00000000406C: 104C66FA FF015010
	v_mul_u32_u24_dpp v39, v16, v51 row_newbcast:4 row_mask:0xf bank_mask:0xf// 000000004074: 104E66FA FF015410
	v_mul_u32_u24_dpp v40, v16, v51 row_newbcast:8 row_mask:0xf bank_mask:0xf// 00000000407C: 105066FA FF015810
	v_mul_u32_u24_dpp v41, v16, v51 row_newbcast:12 row_mask:0xf bank_mask:0xf// 000000004084: 105266FA FF015C10
	v_add_u32_e32 v22, v38, v6                                 // 00000000408C: 682C0D26
	v_add_u32_e32 v23, v39, v6                                 // 000000004090: 682E0D27
	v_add_u32_e32 v24, v40, v6                                 // 000000004094: 68300D28
	v_add_u32_e32 v25, v41, v6                                 // 000000004098: 68320D29
	v_mul_u32_u24_dpp v38, v16, v61 quad_perm:[0,0,0,0] row_mask:0xf bank_mask:0xf// 00000000409C: 104C7AFA FF000010
	v_add_u32_e32 v2, v38, v57                                 // 0000000040A4: 68047326
	v_mul_u32_u24_dpp v38, v16, v61 quad_perm:[0,0,0,0] row_mask:0xf bank_mask:0xf// 0000000040A8: 104C7AFA FF000010
	v_add_u32_e32 v53, v38, v58                                // 0000000040B0: 686A7526
	v_mfma_i32_16x16x32_i8 v[88:91], a[32:33], v[80:81], 0     // 0000000040B4: D3D70058 0A02A120
	buffer_load_dwordx4 a[0:3], v22, s[16:19], 0 offen         // 0000000040BC: E05C1000 80840016
	v_mfma_i32_16x16x32_i8 v[88:91], a[34:35], v[82:83], v[88:91]// 0000000040C4: D3D70058 0D62A522
	v_mfma_i32_16x16x32_i8 v[88:91], a[36:37], v[84:85], v[88:91]// 0000000040CC: D3D70058 0D62A924
	buffer_load_dword v17, v1, s[24:27], 0 offen               // 0000000040D4: E0501000 80061101
	v_mfma_i32_16x16x32_i8 v[88:91], a[38:39], v[86:87], v[88:91]// 0000000040DC: D3D70058 0D62AD26
	v_mfma_i32_16x16x32_i8 v[92:95], a[40:41], v[80:81], 0     // 0000000040E4: D3D7005C 0A02A128
	buffer_load_dwordx4 a[4:7], v22, s[16:19], 0 offen offset:1024// 0000000040EC: E05C1400 80840416
	v_mfma_i32_16x16x32_i8 v[92:95], a[42:43], v[82:83], v[92:95]// 0000000040F4: D3D7005C 0D72A52A
	v_mfma_i32_16x16x32_i8 v[92:95], a[44:45], v[84:85], v[92:95]// 0000000040FC: D3D7005C 0D72A92C
	v_mfma_i32_16x16x32_i8 v[92:95], a[46:47], v[86:87], v[92:95]// 000000004104: D3D7005C 0D72AD2E
	v_mfma_i32_16x16x32_i8 v[96:99], a[48:49], v[80:81], 0     // 00000000410C: D3D70060 0A02A130
	buffer_load_dwordx4 a[8:11], v23, s[16:19], 0 offen        // 000000004114: E05C1000 80840817
	v_mfma_i32_16x16x32_i8 v[96:99], a[50:51], v[82:83], v[96:99]// 00000000411C: D3D70060 0D82A532
	v_mfma_i32_16x16x32_i8 v[96:99], a[52:53], v[84:85], v[96:99]// 000000004124: D3D70060 0D82A934
	v_mfma_i32_16x16x32_i8 v[96:99], a[54:55], v[86:87], v[96:99]// 00000000412C: D3D70060 0D82AD36
	v_mfma_i32_16x16x32_i8 v[100:103], a[56:57], v[80:81], 0   // 000000004134: D3D70064 0A02A138
	buffer_load_dwordx4 a[12:15], v23, s[16:19], 0 offen offset:1024// 00000000413C: E05C1400 80840C17
	v_mfma_i32_16x16x32_i8 v[100:103], a[58:59], v[82:83], v[100:103]// 000000004144: D3D70064 0D92A53A
	v_mfma_i32_16x16x32_i8 v[100:103], a[60:61], v[84:85], v[100:103]// 00000000414C: D3D70064 0D92A93C
	v_mfma_i32_16x16x32_i8 v[100:103], a[62:63], v[86:87], v[100:103]// 000000004154: D3D70064 0D92AD3E
	buffer_load_dword v44, v2, s[32:35], 0 offen               // 00000000415C: E0501000 80082C02
	v_mov_b32_dpp v38, v45 row_shr:4 row_mask:0xf bank_mask:0xf// 000000004164: 7E4C02FA FF01142D
	v_mov_b32_dpp v39, v45 row_shl:4 row_mask:0xf bank_mask:0xf// 00000000416C: 7E4E02FA FF01042D
	v_cndmask_b32_e64 v124, v45, v38, s[44:45]                 // 000000004174: D100007C 00B24D2D
	v_cndmask_b32_e64 v125, v39, v45, s[44:45]                 // 00000000417C: D100007D 00B25B27
	v_mov_b32_dpp v38, v56 row_shr:4 row_mask:0xf bank_mask:0xf// 000000004184: 7E4C02FA FF011438
	v_mov_b32_dpp v39, v56 row_shl:4 row_mask:0xf bank_mask:0xf// 00000000418C: 7E4E02FA FF010438
	v_cndmask_b32_e64 v126, v56, v38, s[44:45]                 // 000000004194: D100007E 00B24D38
	v_cndmask_b32_e64 v127, v39, v56, s[44:45]                 // 00000000419C: D100007F 00B27127
	v_or_b32_dpp v88, v96, v88 row_shr:8 row_mask:0xf bank_mask:0xf bound_ctrl:1// 0000000041A4: 28B0B0FA FF091860
	v_or_b32_dpp v89, v97, v89 row_shr:8 row_mask:0xf bank_mask:0xf bound_ctrl:1// 0000000041AC: 28B2B2FA FF091861
	v_or_b32_dpp v90, v98, v90 row_shr:8 row_mask:0xf bank_mask:0xf bound_ctrl:1// 0000000041B4: 28B4B4FA FF091862
	v_or_b32_dpp v91, v99, v91 row_shr:8 row_mask:0xf bank_mask:0xf bound_ctrl:1// 0000000041BC: 28B6B6FA FF091863
	v_or_b32_dpp v92, v100, v92 row_shr:8 row_mask:0xf bank_mask:0xf bound_ctrl:1// 0000000041C4: 28B8B8FA FF091864
	v_or_b32_dpp v93, v101, v93 row_shr:8 row_mask:0xf bank_mask:0xf bound_ctrl:1// 0000000041CC: 28BABAFA FF091865
	v_or_b32_dpp v94, v102, v94 row_shr:8 row_mask:0xf bank_mask:0xf bound_ctrl:1// 0000000041D4: 28BCBCFA FF091866
	v_or_b32_dpp v95, v103, v95 row_shr:8 row_mask:0xf bank_mask:0xf bound_ctrl:1// 0000000041DC: 28BEBEFA FF091867
	buffer_load_dword v55, v53, s[36:39], 0 offen              // 0000000041E4: E0501000 80093735
	v_cvt_f32_i32_e32 v88, v88                                 // 0000000041EC: 7EB00B58
	v_cvt_f32_i32_e32 v89, v89                                 // 0000000041F0: 7EB20B59
	v_cvt_f32_i32_e32 v90, v90                                 // 0000000041F4: 7EB40B5A
	v_cvt_f32_i32_e32 v91, v91                                 // 0000000041F8: 7EB60B5B
	v_cvt_f32_i32_e32 v92, v92                                 // 0000000041FC: 7EB80B5C
	v_cvt_f32_i32_e32 v93, v93                                 // 000000004200: 7EBA0B5D
	v_cvt_f32_i32_e32 v94, v94                                 // 000000004204: 7EBC0B5E
	v_cvt_f32_i32_e32 v95, v95                                 // 000000004208: 7EBE0B5F
	v_mul_f32_e32 v88, v46, v88                                // 00000000420C: 0AB0B12E
	v_mul_f32_e32 v89, v46, v89                                // 000000004210: 0AB2B32E
	v_mul_f32_e32 v90, v46, v90                                // 000000004214: 0AB4B52E
	v_mul_f32_e32 v91, v46, v91                                // 000000004218: 0AB6B72E
	v_mul_f32_e32 v92, v46, v92                                // 00000000421C: 0AB8B92E
	v_mul_f32_e32 v93, v46, v93                                // 000000004220: 0ABABB2E
	v_mul_f32_e32 v94, v46, v94                                // 000000004224: 0ABCBD2E
	v_mul_f32_e32 v95, v46, v95                                // 000000004228: 0ABEBF2E
	buffer_load_dwordx4 a[16:19], v24, s[16:19], 0 offen       // 00000000422C: E05C1000 80841018
	v_mul_f32_dpp v88, v124, v88 quad_perm:[0,0,0,0] row_mask:0xf bank_mask:0xf// 000000004234: 0AB0B0FA FF00007C
	v_mul_f32_dpp v89, v124, v89 quad_perm:[1,1,1,1] row_mask:0xf bank_mask:0xf// 00000000423C: 0AB2B2FA FF00557C
	v_mul_f32_dpp v90, v124, v90 quad_perm:[2,2,2,2] row_mask:0xf bank_mask:0xf// 000000004244: 0AB4B4FA FF00AA7C
	v_mul_f32_dpp v91, v124, v91 quad_perm:[3,3,3,3] row_mask:0xf bank_mask:0xf// 00000000424C: 0AB6B6FA FF00FF7C
	v_mul_f32_dpp v92, v125, v92 quad_perm:[0,0,0,0] row_mask:0xf bank_mask:0xf// 000000004254: 0AB8B8FA FF00007D
	v_mul_f32_dpp v93, v125, v93 quad_perm:[1,1,1,1] row_mask:0xf bank_mask:0xf// 00000000425C: 0ABABAFA FF00557D
	v_mul_f32_dpp v94, v125, v94 quad_perm:[2,2,2,2] row_mask:0xf bank_mask:0xf// 000000004264: 0ABCBCFA FF00AA7D
	v_mul_f32_dpp v95, v125, v95 quad_perm:[3,3,3,3] row_mask:0xf bank_mask:0xf// 00000000426C: 0ABEBEFA FF00FF7D
	buffer_load_dwordx4 a[20:23], v24, s[16:19], 0 offen offset:1024// 000000004274: E05C1400 80841418
	v_mov_b32_e32 v48, v88                                     // 00000000427C: 7E600358
	v_max3_f32 v48, v88, v89, v48                              // 000000004280: D1D30030 04C2B358
	v_max3_f32 v48, v90, v91, v48                              // 000000004288: D1D30030 04C2B75A
	v_max3_f32 v48, v92, v93, v48                              // 000000004290: D1D30030 04C2BB5C
	v_max3_f32 v48, v94, v95, v48                              // 000000004298: D1D30030 04C2BF5E
	ds_write_b32 v11, v48 offset:4224                          // 0000000042A0: D81A1080 0000300B
	buffer_load_dwordx4 a[24:27], v25, s[16:19], 0 offen       // 0000000042A8: E05C1000 80841819
	v_mul_u32_u24_dpp v38, v16, v51 row_newbcast:1 row_mask:0xf bank_mask:0xf// 0000000042B0: 104C66FA FF015110
	v_mul_u32_u24_dpp v39, v16, v51 row_newbcast:5 row_mask:0xf bank_mask:0xf// 0000000042B8: 104E66FA FF015510
	v_mul_u32_u24_dpp v40, v16, v51 row_newbcast:9 row_mask:0xf bank_mask:0xf// 0000000042C0: 105066FA FF015910
	v_mul_u32_u24_dpp v41, v16, v51 row_newbcast:13 row_mask:0xf bank_mask:0xf// 0000000042C8: 105266FA FF015D10
	v_add_u32_e32 v30, v38, v7                                 // 0000000042D0: 683C0F26
	v_add_u32_e32 v31, v39, v7                                 // 0000000042D4: 683E0F27
	v_add_u32_e32 v32, v40, v7                                 // 0000000042D8: 68400F28
	v_add_u32_e32 v33, v41, v7                                 // 0000000042DC: 68420F29
	s_waitcnt lgkmcnt(0)                                       // 0000000042E0: BF8CC07F
	s_barrier                                                  // 0000000042E4: BF8A0000
	ds_read_b32 v64, v10 offset:4224                           // 0000000042E8: D86C1080 4000000A
	ds_read_b32 v65, v10 offset:4288                           // 0000000042F0: D86C10C0 4100000A
	ds_read_b32 v66, v10 offset:4352                           // 0000000042F8: D86C1100 4200000A
	ds_read_b32 v67, v10 offset:4416                           // 000000004300: D86C1140 4300000A
	ds_read_b32 v68, v10 offset:4480                           // 000000004308: D86C1180 4400000A
	ds_read_b32 v69, v10 offset:4544                           // 000000004310: D86C11C0 4500000A
	ds_read_b32 v70, v10 offset:4608                           // 000000004318: D86C1200 4600000A
	ds_read_b32 v71, v10 offset:4672                           // 000000004320: D86C1240 4700000A
	ds_read_b32 v72, v10 offset:4736                           // 000000004328: D86C1280 4800000A
	ds_read_b32 v73, v10 offset:4800                           // 000000004330: D86C12C0 4900000A
	ds_read_b32 v74, v10 offset:4864                           // 000000004338: D86C1300 4A00000A
	ds_read_b32 v75, v10 offset:4928                           // 000000004340: D86C1340 4B00000A
	ds_read_b32 v76, v10 offset:4992                           // 000000004348: D86C1380 4C00000A
	ds_read_b32 v77, v10 offset:5056                           // 000000004350: D86C13C0 4D00000A
	ds_read_b32 v78, v10 offset:5120                           // 000000004358: D86C1400 4E00000A
	ds_read_b32 v79, v10 offset:5184                           // 000000004360: D86C1440 4F00000A
	buffer_load_dwordx4 a[28:31], v25, s[16:19], 0 offen offset:1024// 000000004368: E05C1400 80841C19
	v_mul_f32_e32 v112, v49, v112                              // 000000004370: 0AE0E131
	v_mul_f32_e32 v113, v49, v113                              // 000000004374: 0AE2E331
	v_mul_f32_e32 v114, v49, v114                              // 000000004378: 0AE4E531
	v_mul_f32_e32 v115, v49, v115                              // 00000000437C: 0AE6E731
	v_or_b32_dpp v104, v108, v104 row_shr:8 row_mask:0xf bank_mask:0xf bound_ctrl:1// 000000004380: 28D0D0FA FF09186C
	v_or_b32_dpp v105, v109, v105 row_shr:8 row_mask:0xf bank_mask:0xf bound_ctrl:1// 000000004388: 28D2D2FA FF09186D
	v_or_b32_dpp v106, v110, v106 row_shr:8 row_mask:0xf bank_mask:0xf bound_ctrl:1// 000000004390: 28D4D4FA FF09186E
	v_or_b32_dpp v107, v111, v107 row_shr:8 row_mask:0xf bank_mask:0xf bound_ctrl:1// 000000004398: 28D6D6FA FF09186F
	s_waitcnt lgkmcnt(0)                                       // 0000000043A0: BF8CC07F
	v_max3_f32 v48, v64, v65, v48                              // 0000000043A4: D1D30030 04C28340
	v_max3_f32 v48, v66, v67, v48                              // 0000000043AC: D1D30030 04C28742
	v_max3_f32 v48, v68, v69, v48                              // 0000000043B4: D1D30030 04C28B44
	v_max3_f32 v48, v70, v71, v48                              // 0000000043BC: D1D30030 04C28F46
	v_max3_f32 v48, v72, v73, v48                              // 0000000043C4: D1D30030 04C29348
	v_max3_f32 v48, v74, v75, v48                              // 0000000043CC: D1D30030 04C2974A
	v_max3_f32 v48, v76, v77, v48                              // 0000000043D4: D1D30030 04C29B4C
	v_max3_f32 v48, v78, v79, v48                              // 0000000043DC: D1D30030 04C29F4E
	buffer_load_dwordx4 a[64:67], v30, s[20:23], 0 offen       // 0000000043E4: E05C1000 8085401E
	v_cmp_eq_u32_e64 s[40:41], v52, v14                        // 0000000043EC: D0CA0028 00021D34
	s_nop 1                                                    // 0000000043F4: BF800001
	v_mov_b32_dpp v38, v48 row_ror:8 row_mask:0xf bank_mask:0xf// 0000000043F8: 7E4C02FA FF012830
	v_max_f32_e32 v48, v48, v38                                // 000000004400: 16604D30
	v_max_f32_e32 v15, v48, v14                                // 000000004404: 161E1D30
	v_mul_f32_e32 v50, s64, v15                                // 000000004408: 0A641E40
	v_fma_f32 v88, v88, s64, -v50                              // 00000000440C: D1CB0058 84C88158
	v_fma_f32 v89, v89, s64, -v50                              // 000000004414: D1CB0059 84C88159
	v_fma_f32 v90, v90, s64, -v50                              // 00000000441C: D1CB005A 84C8815A
	v_fma_f32 v91, v91, s64, -v50                              // 000000004424: D1CB005B 84C8815B
	v_fma_f32 v92, v92, s64, -v50                              // 00000000442C: D1CB005C 84C8815C
	v_fma_f32 v93, v93, s64, -v50                              // 000000004434: D1CB005D 84C8815D
	v_fma_f32 v94, v94, s64, -v50                              // 00000000443C: D1CB005E 84C8815E
	v_fma_f32 v95, v95, s64, -v50                              // 000000004444: D1CB005F 84C8815F
	buffer_load_dwordx4 a[68:71], v31, s[20:23], 0 offen       // 00000000444C: E05C1000 8085441F
	v_exp_f32_e32 v88, v88                                     // 000000004454: 7EB04158
	v_exp_f32_e32 v89, v89                                     // 000000004458: 7EB24159
	v_exp_f32_e32 v90, v90                                     // 00000000445C: 7EB4415A
	v_exp_f32_e32 v91, v91                                     // 000000004460: 7EB6415B
	v_exp_f32_e32 v92, v92                                     // 000000004464: 7EB8415C
	v_exp_f32_e32 v93, v93                                     // 000000004468: 7EBA415D
	v_exp_f32_e32 v94, v94                                     // 00000000446C: 7EBC415E
	v_exp_f32_e32 v95, v95                                     // 000000004470: 7EBE415F
	buffer_load_dwordx4 a[72:75], v32, s[20:23], 0 offen       // 000000004474: E05C1000 80854820
	v_mul_f32_dpp v116, v126, v88 quad_perm:[0,0,0,0] row_mask:0xf bank_mask:0xf// 00000000447C: 0AE8B0FA FF00007E
	v_mul_f32_dpp v117, v126, v89 quad_perm:[1,1,1,1] row_mask:0xf bank_mask:0xf// 000000004484: 0AEAB2FA FF00557E
	v_mul_f32_dpp v118, v126, v90 quad_perm:[2,2,2,2] row_mask:0xf bank_mask:0xf// 00000000448C: 0AECB4FA FF00AA7E
	v_mul_f32_dpp v119, v126, v91 quad_perm:[3,3,3,3] row_mask:0xf bank_mask:0xf// 000000004494: 0AEEB6FA FF00FF7E
	v_mul_f32_dpp v120, v127, v92 quad_perm:[0,0,0,0] row_mask:0xf bank_mask:0xf// 00000000449C: 0AF0B8FA FF00007F
	v_mul_f32_dpp v121, v127, v93 quad_perm:[1,1,1,1] row_mask:0xf bank_mask:0xf// 0000000044A4: 0AF2BAFA FF00557F
	v_mul_f32_dpp v122, v127, v94 quad_perm:[2,2,2,2] row_mask:0xf bank_mask:0xf// 0000000044AC: 0AF4BCFA FF00AA7F
	v_mul_f32_dpp v123, v127, v95 quad_perm:[3,3,3,3] row_mask:0xf bank_mask:0xf// 0000000044B4: 0AF6BEFA FF00FF7F
	v_mov_b32_e32 v48, 0x358637bd                              // 0000000044BC: 7E6002FF 358637BD
	v_max3_f32 v48, |v116|, |v117|, v48                        // 0000000044C4: D1D30330 04C2EB74
	v_max3_f32 v48, |v118|, |v119|, v48                        // 0000000044CC: D1D30330 04C2EF76
	v_max3_f32 v48, |v120|, |v121|, v48                        // 0000000044D4: D1D30330 04C2F378
	v_max3_f32 v48, |v122|, |v123|, v48                        // 0000000044DC: D1D30330 04C2F77A
	buffer_load_dwordx4 a[76:79], v33, s[20:23], 0 offen       // 0000000044E4: E05C1000 80854C21
	ds_write_b32 v11, v48 offset:5248                          // 0000000044EC: D81A1480 0000300B
	v_sub_f32_e32 v49, v14, v15                                // 0000000044F4: 04621F0E
	v_cndmask_b32_e64 v49, v49, 0, s[40:41]                    // 0000000044F8: D1000031 00A10131
	v_mov_b32_e32 v14, v15                                     // 000000004500: 7E1C030F
	v_mul_f32_e32 v49, s64, v49                                // 000000004504: 0A626240
	v_exp_f32_e32 v49, v49                                     // 000000004508: 7E624131
	s_waitcnt lgkmcnt(0)                                       // 00000000450C: BF8CC07F
	s_barrier                                                  // 000000004510: BF8A0000
	ds_read_b32 v64, v10 offset:5248                           // 000000004514: D86C1480 4000000A
	ds_read_b32 v65, v10 offset:5312                           // 00000000451C: D86C14C0 4100000A
	ds_read_b32 v66, v10 offset:5376                           // 000000004524: D86C1500 4200000A
	ds_read_b32 v67, v10 offset:5440                           // 00000000452C: D86C1540 4300000A
	ds_read_b32 v68, v10 offset:5504                           // 000000004534: D86C1580 4400000A
	ds_read_b32 v69, v10 offset:5568                           // 00000000453C: D86C15C0 4500000A
	ds_read_b32 v70, v10 offset:5632                           // 000000004544: D86C1600 4600000A
	ds_read_b32 v71, v10 offset:5696                           // 00000000454C: D86C1640 4700000A
	ds_read_b32 v72, v10 offset:5760                           // 000000004554: D86C1680 4800000A
	ds_read_b32 v73, v10 offset:5824                           // 00000000455C: D86C16C0 4900000A
	ds_read_b32 v74, v10 offset:5888                           // 000000004564: D86C1700 4A00000A
	ds_read_b32 v75, v10 offset:5952                           // 00000000456C: D86C1740 4B00000A
	ds_read_b32 v76, v10 offset:6016                           // 000000004574: D86C1780 4C00000A
	ds_read_b32 v77, v10 offset:6080                           // 00000000457C: D86C17C0 4D00000A
	ds_read_b32 v78, v10 offset:6144                           // 000000004584: D86C1800 4E00000A
	ds_read_b32 v79, v10 offset:6208                           // 00000000458C: D86C1840 4F00000A
	v_mul_f32_e32 v42, v49, v42                                // 000000004594: 0A545531
	v_mov_b32_e32 v43, v88                                     // 000000004598: 7E560358
	v_add_f32_e32 v43, v89, v43                                // 00000000459C: 02565759
	v_add_f32_e32 v43, v90, v43                                // 0000000045A0: 0256575A
	v_add_f32_e32 v43, v91, v43                                // 0000000045A4: 0256575B
	v_add_f32_e32 v43, v92, v43                                // 0000000045A8: 0256575C
	v_add_f32_e32 v43, v93, v43                                // 0000000045AC: 0256575D
	v_add_f32_e32 v43, v94, v43                                // 0000000045B0: 0256575E
	v_add_f32_e32 v43, v95, v43                                // 0000000045B4: 0256575F
	v_add_f32_e32 v42, v43, v42                                // 0000000045B8: 0254552B
	s_waitcnt lgkmcnt(0)                                       // 0000000045BC: BF8CC07F
	v_max3_f32 v48, |v64|, |v65|, v48                          // 0000000045C0: D1D30330 04C28340
	v_max3_f32 v48, |v66|, |v67|, v48                          // 0000000045C8: D1D30330 04C28742
	v_max3_f32 v48, |v68|, |v69|, v48                          // 0000000045D0: D1D30330 04C28B44
	v_max3_f32 v48, |v70|, |v71|, v48                          // 0000000045D8: D1D30330 04C28F46
	v_max3_f32 v48, |v72|, |v73|, v48                          // 0000000045E0: D1D30330 04C29348
	v_max3_f32 v48, |v74|, |v75|, v48                          // 0000000045E8: D1D30330 04C2974A
	v_max3_f32 v48, |v76|, |v77|, v48                          // 0000000045F0: D1D30330 04C29B4C
	v_max3_f32 v48, |v78|, |v79|, v48                          // 0000000045F8: D1D30330 04C29F4E
	s_nop 2                                                    // 000000004600: BF800002
	v_mov_b32_dpp v38, v48 row_ror:8 row_mask:0xf bank_mask:0xf// 000000004604: 7E4C02FA FF012830
	v_max_f32_e32 v48, v48, v38                                // 00000000460C: 16604D30
	v_rcp_f32_e32 v48, v48                                     // 000000004610: 7E604530
	s_nop 1                                                    // 000000004614: BF800001
	v_mul_f32_e32 v48, 0x42fe0000, v48                         // 000000004618: 0A6060FF 42FE0000
	v_mul_f32_e32 v88, v48, v116                               // 000000004620: 0AB0E930
	v_mul_f32_e32 v89, v48, v117                               // 000000004624: 0AB2EB30
	v_mul_f32_e32 v90, v48, v118                               // 000000004628: 0AB4ED30
	v_mul_f32_e32 v91, v48, v119                               // 00000000462C: 0AB6EF30
	v_mul_f32_e32 v92, v48, v120                               // 000000004630: 0AB8F130
	v_mul_f32_e32 v93, v48, v121                               // 000000004634: 0ABAF330
	v_mul_f32_e32 v94, v48, v122                               // 000000004638: 0ABCF530
	v_mul_f32_e32 v95, v48, v123                               // 00000000463C: 0ABEF730
	v_cvt_i32_f32_e32 v88, v88                                 // 000000004640: 7EB01158
	v_cvt_i32_f32_e32 v89, v89                                 // 000000004644: 7EB21159
	v_cvt_i32_f32_e32 v90, v90                                 // 000000004648: 7EB4115A
	v_cvt_i32_f32_e32 v91, v91                                 // 00000000464C: 7EB6115B
	v_cvt_i32_f32_e32 v92, v92                                 // 000000004650: 7EB8115C
	v_cvt_i32_f32_e32 v93, v93                                 // 000000004654: 7EBA115D
	v_cvt_i32_f32_e32 v94, v94                                 // 000000004658: 7EBC115E
	v_cvt_i32_f32_e32 v95, v95                                 // 00000000465C: 7EBE115F
	v_perm_b32 v88, v89, v88, s53                              // 000000004660: D1ED0058 00D6B159
	v_perm_b32 v88, v90, v88, s54                              // 000000004668: D1ED0058 00DAB15A
	v_perm_b32 v88, v91, v88, s55                              // 000000004670: D1ED0058 00DEB15B
	v_perm_b32 v89, v93, v92, s53                              // 000000004678: D1ED0059 00D6B95D
	v_perm_b32 v89, v94, v89, s54                              // 000000004680: D1ED0059 00DAB35E
	v_perm_b32 v89, v95, v89, s55                              // 000000004688: D1ED0059 00DEB35F
	ds_write_b32 v13, v88 offset:6272                          // 000000004690: D81A1880 0000580D
	ds_write_b32 v13, v89 offset:7296                          // 000000004698: D81A1C80 0000590D
	v_cvt_f32_i32_e32 v104, v104                               // 0000000046A0: 7ED00B68
	v_cvt_f32_i32_e32 v105, v105                               // 0000000046A4: 7ED20B69
	v_cvt_f32_i32_e32 v106, v106                               // 0000000046A8: 7ED40B6A
	v_cvt_f32_i32_e32 v107, v107                               // 0000000046AC: 7ED60B6B
	v_mul_f32_e32 v104, v47, v104                              // 0000000046B0: 0AD0D12F
	v_mul_f32_e32 v105, v47, v105                              // 0000000046B4: 0AD2D32F
	v_mul_f32_e32 v106, v47, v106                              // 0000000046B8: 0AD4D52F
	v_mul_f32_e32 v107, v47, v107                              // 0000000046BC: 0AD6D72F
	v_rcp_f32_e32 v47, v48                                     // 0000000046C0: 7E5E4530
	s_waitcnt lgkmcnt(0)                                       // 0000000046C4: BF8CC07F
	s_barrier                                                  // 0000000046C8: BF8A0000
	ds_read_b64 v[88:89], v12 offset:6272                      // 0000000046CC: D8EC1880 5800000C
	ds_read_b64 v[90:91], v12 offset:6400                      // 0000000046D4: D8EC1900 5A00000C
	ds_read_b64 v[92:93], v12 offset:7296                      // 0000000046DC: D8EC1C80 5C00000C
	ds_read_b64 v[94:95], v12 offset:7424                      // 0000000046E4: D8EC1D00 5E00000C
	v_add_f32_e32 v112, v112, v104                             // 0000000046EC: 02E0D170
	v_add_f32_e32 v113, v113, v105                             // 0000000046F0: 02E2D371
	v_add_f32_e32 v114, v114, v106                             // 0000000046F4: 02E4D572
	v_add_f32_e32 v115, v115, v107                             // 0000000046F8: 02E6D773
	s_waitcnt lgkmcnt(3)                                       // 0000000046FC: BF8CC37F
	v_mov_b32_dpp v96, v88 row_shl:8 row_mask:0xf bank_mask:0xf bound_ctrl:1// 000000004700: 7EC002FA FF090858
	v_and_b32_e32 v88, v88, v9                                 // 000000004708: 26B01358
	v_mov_b32_dpp v97, v89 row_shl:8 row_mask:0xf bank_mask:0xf bound_ctrl:1// 00000000470C: 7EC202FA FF090859
	v_and_b32_e32 v89, v89, v9                                 // 000000004714: 26B21359
	s_waitcnt lgkmcnt(2)                                       // 000000004718: BF8CC27F
	v_mov_b32_dpp v98, v90 row_shl:8 row_mask:0xf bank_mask:0xf bound_ctrl:1// 00000000471C: 7EC402FA FF09085A
	v_and_b32_e32 v90, v90, v9                                 // 000000004724: 26B4135A
	v_mov_b32_dpp v99, v91 row_shl:8 row_mask:0xf bank_mask:0xf bound_ctrl:1// 000000004728: 7EC602FA FF09085B
	v_and_b32_e32 v91, v91, v9                                 // 000000004730: 26B6135B
	s_waitcnt lgkmcnt(1)                                       // 000000004734: BF8CC17F
	v_mov_b32_dpp v100, v92 row_shl:8 row_mask:0xf bank_mask:0xf bound_ctrl:1// 000000004738: 7EC802FA FF09085C
	v_and_b32_e32 v92, v92, v9                                 // 000000004740: 26B8135C
	v_mov_b32_dpp v101, v93 row_shl:8 row_mask:0xf bank_mask:0xf bound_ctrl:1// 000000004744: 7ECA02FA FF09085D
	v_and_b32_e32 v93, v93, v9                                 // 00000000474C: 26BA135D
	s_waitcnt lgkmcnt(0)                                       // 000000004750: BF8CC07F
	v_mov_b32_dpp v102, v94 row_shl:8 row_mask:0xf bank_mask:0xf bound_ctrl:1// 000000004754: 7ECC02FA FF09085E
	v_and_b32_e32 v94, v94, v9                                 // 00000000475C: 26BC135E
	v_mov_b32_dpp v103, v95 row_shl:8 row_mask:0xf bank_mask:0xf bound_ctrl:1// 000000004760: 7ECE02FA FF09085F
	v_and_b32_e32 v95, v95, v9                                 // 000000004768: 26BE135F
	s_waitcnt vmcnt(15)                                        // 00000000476C: BF8C0F7F
	v_mfma_i32_16x16x32_i8 v[104:107], a[96:97], v[88:89], 0   // 000000004770: D3D70068 0A02B160
	buffer_load_dwordx4 a[80:83], v30, s[20:23], 0 offen offset:1024// 000000004778: E05C1400 8085501E
	v_mfma_i32_16x16x32_i8 v[104:107], a[98:99], v[90:91], v[104:107]// 000000004780: D3D70068 0DA2B562
	v_mfma_i32_16x16x32_i8 v[104:107], a[100:101], v[92:93], v[104:107]// 000000004788: D3D70068 0DA2B964
	v_mfma_i32_16x16x32_i8 v[104:107], a[102:103], v[94:95], v[104:107]// 000000004790: D3D70068 0DA2BD66
	v_mfma_i32_16x16x32_i8 v[104:107], a[104:105], v[96:97], v[104:107]// 000000004798: D3D70068 0DA2C168
	buffer_load_dwordx4 a[84:87], v31, s[20:23], 0 offen offset:1024// 0000000047A0: E05C1400 8085541F
	v_mfma_i32_16x16x32_i8 v[104:107], a[106:107], v[98:99], v[104:107]// 0000000047A8: D3D70068 0DA2C56A
	v_mfma_i32_16x16x32_i8 v[104:107], a[108:109], v[100:101], v[104:107]// 0000000047B0: D3D70068 0DA2C96C
	v_mfma_i32_16x16x32_i8 v[104:107], a[110:111], v[102:103], v[104:107]// 0000000047B8: D3D70068 0DA2CD6E
	v_mfma_i32_16x16x32_i8 v[108:111], a[112:113], v[88:89], 0 // 0000000047C0: D3D7006C 0A02B170
	buffer_load_dwordx4 a[88:91], v32, s[20:23], 0 offen offset:1024// 0000000047C8: E05C1400 80855820
	v_mfma_i32_16x16x32_i8 v[108:111], a[114:115], v[90:91], v[108:111]// 0000000047D0: D3D7006C 0DB2B572
	v_mfma_i32_16x16x32_i8 v[108:111], a[116:117], v[92:93], v[108:111]// 0000000047D8: D3D7006C 0DB2B974
	v_mfma_i32_16x16x32_i8 v[108:111], a[118:119], v[94:95], v[108:111]// 0000000047E0: D3D7006C 0DB2BD76
	v_mfma_i32_16x16x32_i8 v[108:111], a[120:121], v[96:97], v[108:111]// 0000000047E8: D3D7006C 0DB2C178
	buffer_load_dwordx4 a[92:95], v33, s[20:23], 0 offen offset:1024// 0000000047F0: E05C1400 80855C21
	v_mfma_i32_16x16x32_i8 v[108:111], a[122:123], v[98:99], v[108:111]// 0000000047F8: D3D7006C 0DB2C57A
	v_mfma_i32_16x16x32_i8 v[108:111], a[124:125], v[100:101], v[108:111]// 000000004800: D3D7006C 0DB2C97C
	s_lshr_b32 s57, s70, 4                                     // 000000004808: 8F398446
	s_add_u32 s57, 48, s57                                     // 00000000480C: 803939B0
	v_mfma_i32_16x16x32_i8 v[108:111], a[126:127], v[102:103], v[108:111]// 000000004810: D3D7006C 0DB2CD7E
	s_cmp_ge_u32 s57, s73                                      // 000000004818: BF094939
	s_cselect_b32 s56, 0, s56                                  // 00000000481C: 85383880
	v_add_u32_e32 v1, s56, v1                                  // 000000004820: 68020238
	s_addk_i32 s70, 0x100                                      // 000000004824: B7460100
	s_cmp_lt_i32 s70, s71                                      // 000000004828: BF044746
	s_cbranch_scc0 label_05E5                                  // 00000000482C: BF84FC19
	s_branch label_05E8                                        // 000000004830: BF82FC1B

0000000000004834 <label_09CD>:
	s_lshr_b32 s60, s71, 4                                     // 000000004834: 8F3C8447
	s_cmp_eq_i32 s60, s73                                      // 000000004838: BF00493C
	s_cbranch_scc1 label_0DBE                                  // 00000000483C: BF8503EE
	s_lshr_b32 s60, s71, 8                                     // 000000004840: 8F3C8847
	s_and_b32 s60, s60, 1                                      // 000000004844: 863C813C
	s_cmp_eq_i32 s60, 1                                        // 000000004848: BF00813C
	s_cbranch_scc1 label_0BC9                                  // 00000000484C: BF8501F5
	s_waitcnt vmcnt(8) lgkmcnt(0)                              // 000000004850: BF8C0078
	s_barrier                                                  // 000000004854: BF8A0000
	v_mfma_i32_16x16x32_i8 v[88:91], a[0:1], v[80:81], 0       // 000000004858: D3D70058 0A02A100
	v_mfma_i32_16x16x32_i8 v[88:91], a[2:3], v[82:83], v[88:91]// 000000004860: D3D70058 0D62A502
	v_mfma_i32_16x16x32_i8 v[88:91], a[4:5], v[84:85], v[88:91]// 000000004868: D3D70058 0D62A904
	v_mfma_i32_16x16x32_i8 v[88:91], a[6:7], v[86:87], v[88:91]// 000000004870: D3D70058 0D62AD06
	v_mfma_i32_16x16x32_i8 v[92:95], a[8:9], v[80:81], 0       // 000000004878: D3D7005C 0A02A108
	v_mfma_i32_16x16x32_i8 v[92:95], a[10:11], v[82:83], v[92:95]// 000000004880: D3D7005C 0D72A50A
	v_mfma_i32_16x16x32_i8 v[92:95], a[12:13], v[84:85], v[92:95]// 000000004888: D3D7005C 0D72A90C
	v_mfma_i32_16x16x32_i8 v[92:95], a[14:15], v[86:87], v[92:95]// 000000004890: D3D7005C 0D72AD0E
	v_mfma_i32_16x16x32_i8 v[96:99], a[16:17], v[80:81], 0     // 000000004898: D3D70060 0A02A110
	v_mfma_i32_16x16x32_i8 v[96:99], a[18:19], v[82:83], v[96:99]// 0000000048A0: D3D70060 0D82A512
	v_mfma_i32_16x16x32_i8 v[96:99], a[20:21], v[84:85], v[96:99]// 0000000048A8: D3D70060 0D82A914
	v_mfma_i32_16x16x32_i8 v[96:99], a[22:23], v[86:87], v[96:99]// 0000000048B0: D3D70060 0D82AD16
	v_mfma_i32_16x16x32_i8 v[100:103], a[24:25], v[80:81], 0   // 0000000048B8: D3D70064 0A02A118
	v_mfma_i32_16x16x32_i8 v[100:103], a[26:27], v[82:83], v[100:103]// 0000000048C0: D3D70064 0D92A51A
	v_mfma_i32_16x16x32_i8 v[100:103], a[28:29], v[84:85], v[100:103]// 0000000048C8: D3D70064 0D92A91C
	v_mfma_i32_16x16x32_i8 v[100:103], a[30:31], v[86:87], v[100:103]// 0000000048D0: D3D70064 0D92AD1E
	v_mov_b32_dpp v38, v44 row_shr:4 row_mask:0xf bank_mask:0xf// 0000000048D8: 7E4C02FA FF01142C
	v_mov_b32_dpp v39, v44 row_shl:4 row_mask:0xf bank_mask:0xf// 0000000048E0: 7E4E02FA FF01042C
	v_cndmask_b32_e64 v124, v44, v38, s[44:45]                 // 0000000048E8: D100007C 00B24D2C
	v_cndmask_b32_e64 v125, v39, v44, s[44:45]                 // 0000000048F0: D100007D 00B25927
	v_mov_b32_dpp v38, v55 row_shr:4 row_mask:0xf bank_mask:0xf// 0000000048F8: 7E4C02FA FF011437
	v_mov_b32_dpp v39, v55 row_shl:4 row_mask:0xf bank_mask:0xf// 000000004900: 7E4E02FA FF010437
	v_cndmask_b32_e64 v126, v55, v38, s[44:45]                 // 000000004908: D100007E 00B24D37
	v_cndmask_b32_e64 v127, v39, v55, s[44:45]                 // 000000004910: D100007F 00B26F27
	v_or_b32_dpp v88, v96, v88 row_shr:8 row_mask:0xf bank_mask:0xf bound_ctrl:1// 000000004918: 28B0B0FA FF091860
	v_or_b32_dpp v89, v97, v89 row_shr:8 row_mask:0xf bank_mask:0xf bound_ctrl:1// 000000004920: 28B2B2FA FF091861
	v_or_b32_dpp v90, v98, v90 row_shr:8 row_mask:0xf bank_mask:0xf bound_ctrl:1// 000000004928: 28B4B4FA FF091862
	v_or_b32_dpp v91, v99, v91 row_shr:8 row_mask:0xf bank_mask:0xf bound_ctrl:1// 000000004930: 28B6B6FA FF091863
	v_or_b32_dpp v92, v100, v92 row_shr:8 row_mask:0xf bank_mask:0xf bound_ctrl:1// 000000004938: 28B8B8FA FF091864
	v_or_b32_dpp v93, v101, v93 row_shr:8 row_mask:0xf bank_mask:0xf bound_ctrl:1// 000000004940: 28BABAFA FF091865
	v_or_b32_dpp v94, v102, v94 row_shr:8 row_mask:0xf bank_mask:0xf bound_ctrl:1// 000000004948: 28BCBCFA FF091866
	v_or_b32_dpp v95, v103, v95 row_shr:8 row_mask:0xf bank_mask:0xf bound_ctrl:1// 000000004950: 28BEBEFA FF091867
	v_cvt_f32_i32_e32 v88, v88                                 // 000000004958: 7EB00B58
	v_cvt_f32_i32_e32 v89, v89                                 // 00000000495C: 7EB20B59
	v_cvt_f32_i32_e32 v90, v90                                 // 000000004960: 7EB40B5A
	v_cvt_f32_i32_e32 v91, v91                                 // 000000004964: 7EB60B5B
	v_cvt_f32_i32_e32 v92, v92                                 // 000000004968: 7EB80B5C
	v_cvt_f32_i32_e32 v93, v93                                 // 00000000496C: 7EBA0B5D
	v_cvt_f32_i32_e32 v94, v94                                 // 000000004970: 7EBC0B5E
	v_cvt_f32_i32_e32 v95, v95                                 // 000000004974: 7EBE0B5F
	v_mul_f32_e32 v88, v46, v88                                // 000000004978: 0AB0B12E
	v_mul_f32_e32 v89, v46, v89                                // 00000000497C: 0AB2B32E
	v_mul_f32_e32 v90, v46, v90                                // 000000004980: 0AB4B52E
	v_mul_f32_e32 v91, v46, v91                                // 000000004984: 0AB6B72E
	v_mul_f32_e32 v92, v46, v92                                // 000000004988: 0AB8B92E
	v_mul_f32_e32 v93, v46, v93                                // 00000000498C: 0ABABB2E
	v_mul_f32_e32 v94, v46, v94                                // 000000004990: 0ABCBD2E
	v_mul_f32_e32 v95, v46, v95                                // 000000004994: 0ABEBF2E
	v_mul_f32_dpp v88, v124, v88 quad_perm:[0,0,0,0] row_mask:0xf bank_mask:0xf// 000000004998: 0AB0B0FA FF00007C
	v_mul_f32_dpp v89, v124, v89 quad_perm:[1,1,1,1] row_mask:0xf bank_mask:0xf// 0000000049A0: 0AB2B2FA FF00557C
	v_mul_f32_dpp v90, v124, v90 quad_perm:[2,2,2,2] row_mask:0xf bank_mask:0xf// 0000000049A8: 0AB4B4FA FF00AA7C
	v_mul_f32_dpp v91, v124, v91 quad_perm:[3,3,3,3] row_mask:0xf bank_mask:0xf// 0000000049B0: 0AB6B6FA FF00FF7C
	v_mul_f32_dpp v92, v125, v92 quad_perm:[0,0,0,0] row_mask:0xf bank_mask:0xf// 0000000049B8: 0AB8B8FA FF00007D
	v_mul_f32_dpp v93, v125, v93 quad_perm:[1,1,1,1] row_mask:0xf bank_mask:0xf// 0000000049C0: 0ABABAFA FF00557D
	v_mul_f32_dpp v94, v125, v94 quad_perm:[2,2,2,2] row_mask:0xf bank_mask:0xf// 0000000049C8: 0ABCBCFA FF00AA7D
	v_mul_f32_dpp v95, v125, v95 quad_perm:[3,3,3,3] row_mask:0xf bank_mask:0xf// 0000000049D0: 0ABEBEFA FF00FF7D
	s_and_b32 s60, s72, 0xff                                   // 0000000049D8: 863CFF48 000000FF
	v_mov_b32_e32 v62, s60                                     // 0000000049E0: 7E7C023C
	v_lshrrev_b32_e32 v116, 4, v0                              // 0000000049E4: 20E80084
	v_mul_i32_i24_e32 v116, 4, v116                            // 0000000049E8: 0CE8E884
	v_and_b32_e32 v38, 15, v0                                  // 0000000049EC: 264C008F
	v_lshrrev_b32_e32 v38, 3, v38                              // 0000000049F0: 204C4C83
	v_mul_i32_i24_e32 v38, 0x80, v38                           // 0000000049F4: 0C4C4CFF 00000080
	v_add_u32_e32 v116, v38, v116                              // 0000000049FC: 68E8E926
	s_mul_i32 s60, s7, 16                                      // 000000004A00: 923C9007
	v_add_u32_e32 v116, s60, v116                              // 000000004A04: 68E8E83C
	v_add_u32_e32 v117, 1, v116                                // 000000004A08: 68EAE881
	v_add_u32_e32 v118, 2, v116                                // 000000004A0C: 68ECE882
	v_add_u32_e32 v119, 3, v116                                // 000000004A10: 68EEE883
	v_cmp_lt_u32_e64 s[40:41], v116, v62                       // 000000004A14: D0C90028 00027D74
	v_add_u32_e32 v116, 64, v116                               // 000000004A1C: 68E8E8C0
	s_nop 0                                                    // 000000004A20: BF800000
	v_cndmask_b32_e64 v88, v52, v88, s[40:41]                  // 000000004A24: D1000058 00A2B134
	v_cmp_lt_u32_e64 s[40:41], v117, v62                       // 000000004A2C: D0C90028 00027D75
	v_add_u32_e32 v117, 64, v117                               // 000000004A34: 68EAEAC0
	s_nop 0                                                    // 000000004A38: BF800000
	v_cndmask_b32_e64 v89, v52, v89, s[40:41]                  // 000000004A3C: D1000059 00A2B334
	v_cmp_lt_u32_e64 s[40:41], v118, v62                       // 000000004A44: D0C90028 00027D76
	v_add_u32_e32 v118, 64, v118                               // 000000004A4C: 68ECECC0
	s_nop 0                                                    // 000000004A50: BF800000
	v_cndmask_b32_e64 v90, v52, v90, s[40:41]                  // 000000004A54: D100005A 00A2B534
	v_cmp_lt_u32_e64 s[40:41], v119, v62                       // 000000004A5C: D0C90028 00027D77
	v_add_u32_e32 v119, 64, v119                               // 000000004A64: 68EEEEC0
	s_nop 0                                                    // 000000004A68: BF800000
	v_cndmask_b32_e64 v91, v52, v91, s[40:41]                  // 000000004A6C: D100005B 00A2B734
	v_cmp_lt_u32_e64 s[40:41], v116, v62                       // 000000004A74: D0C90028 00027D74
	v_add_u32_e32 v116, 64, v116                               // 000000004A7C: 68E8E8C0
	s_nop 0                                                    // 000000004A80: BF800000
	v_cndmask_b32_e64 v92, v52, v92, s[40:41]                  // 000000004A84: D100005C 00A2B934
	v_cmp_lt_u32_e64 s[40:41], v117, v62                       // 000000004A8C: D0C90028 00027D75
	v_add_u32_e32 v117, 64, v117                               // 000000004A94: 68EAEAC0
	s_nop 0                                                    // 000000004A98: BF800000
	v_cndmask_b32_e64 v93, v52, v93, s[40:41]                  // 000000004A9C: D100005D 00A2BB34
	v_cmp_lt_u32_e64 s[40:41], v118, v62                       // 000000004AA4: D0C90028 00027D76
	v_add_u32_e32 v118, 64, v118                               // 000000004AAC: 68ECECC0
	s_nop 0                                                    // 000000004AB0: BF800000
	v_cndmask_b32_e64 v94, v52, v94, s[40:41]                  // 000000004AB4: D100005E 00A2BD34
	v_cmp_lt_u32_e64 s[40:41], v119, v62                       // 000000004ABC: D0C90028 00027D77
	v_add_u32_e32 v119, 64, v119                               // 000000004AC4: 68EEEEC0
	s_nop 0                                                    // 000000004AC8: BF800000
	v_cndmask_b32_e64 v95, v52, v95, s[40:41]                  // 000000004ACC: D100005F 00A2BF34
	v_mov_b32_e32 v48, v88                                     // 000000004AD4: 7E600358
	v_max3_f32 v48, v88, v89, v48                              // 000000004AD8: D1D30030 04C2B358
	v_max3_f32 v48, v90, v91, v48                              // 000000004AE0: D1D30030 04C2B75A
	v_max3_f32 v48, v92, v93, v48                              // 000000004AE8: D1D30030 04C2BB5C
	v_max3_f32 v48, v94, v95, v48                              // 000000004AF0: D1D30030 04C2BF5E
	ds_write_b32 v11, v48 offset:4224                          // 000000004AF8: D81A1080 0000300B
	v_mul_u32_u24_dpp v38, v17, v51 row_newbcast:1 row_mask:0xf bank_mask:0xf// 000000004B00: 104C66FA FF015111
	v_mul_u32_u24_dpp v39, v17, v51 row_newbcast:5 row_mask:0xf bank_mask:0xf// 000000004B08: 104E66FA FF015511
	v_mul_u32_u24_dpp v40, v17, v51 row_newbcast:9 row_mask:0xf bank_mask:0xf// 000000004B10: 105066FA FF015911
	v_mul_u32_u24_dpp v41, v17, v51 row_newbcast:13 row_mask:0xf bank_mask:0xf// 000000004B18: 105266FA FF015D11
	v_add_u32_e32 v34, v38, v7                                 // 000000004B20: 68440F26
	v_add_u32_e32 v35, v39, v7                                 // 000000004B24: 68460F27
	v_add_u32_e32 v36, v40, v7                                 // 000000004B28: 68480F28
	v_add_u32_e32 v37, v41, v7                                 // 000000004B2C: 684A0F29
	s_waitcnt lgkmcnt(0)                                       // 000000004B30: BF8CC07F
	s_barrier                                                  // 000000004B34: BF8A0000
	ds_read_b32 v64, v10 offset:4224                           // 000000004B38: D86C1080 4000000A
	ds_read_b32 v65, v10 offset:4288                           // 000000004B40: D86C10C0 4100000A
	ds_read_b32 v66, v10 offset:4352                           // 000000004B48: D86C1100 4200000A
	ds_read_b32 v67, v10 offset:4416                           // 000000004B50: D86C1140 4300000A
	ds_read_b32 v68, v10 offset:4480                           // 000000004B58: D86C1180 4400000A
	ds_read_b32 v69, v10 offset:4544                           // 000000004B60: D86C11C0 4500000A
	ds_read_b32 v70, v10 offset:4608                           // 000000004B68: D86C1200 4600000A
	ds_read_b32 v71, v10 offset:4672                           // 000000004B70: D86C1240 4700000A
	ds_read_b32 v72, v10 offset:4736                           // 000000004B78: D86C1280 4800000A
	ds_read_b32 v73, v10 offset:4800                           // 000000004B80: D86C12C0 4900000A
	ds_read_b32 v74, v10 offset:4864                           // 000000004B88: D86C1300 4A00000A
	ds_read_b32 v75, v10 offset:4928                           // 000000004B90: D86C1340 4B00000A
	ds_read_b32 v76, v10 offset:4992                           // 000000004B98: D86C1380 4C00000A
	ds_read_b32 v77, v10 offset:5056                           // 000000004BA0: D86C13C0 4D00000A
	ds_read_b32 v78, v10 offset:5120                           // 000000004BA8: D86C1400 4E00000A
	ds_read_b32 v79, v10 offset:5184                           // 000000004BB0: D86C1440 4F00000A
	v_mul_f32_e32 v112, v49, v112                              // 000000004BB8: 0AE0E131
	v_mul_f32_e32 v113, v49, v113                              // 000000004BBC: 0AE2E331
	v_mul_f32_e32 v114, v49, v114                              // 000000004BC0: 0AE4E531
	v_mul_f32_e32 v115, v49, v115                              // 000000004BC4: 0AE6E731
	v_or_b32_dpp v104, v108, v104 row_shr:8 row_mask:0xf bank_mask:0xf bound_ctrl:1// 000000004BC8: 28D0D0FA FF09186C
	v_or_b32_dpp v105, v109, v105 row_shr:8 row_mask:0xf bank_mask:0xf bound_ctrl:1// 000000004BD0: 28D2D2FA FF09186D
	v_or_b32_dpp v106, v110, v106 row_shr:8 row_mask:0xf bank_mask:0xf bound_ctrl:1// 000000004BD8: 28D4D4FA FF09186E
	v_or_b32_dpp v107, v111, v107 row_shr:8 row_mask:0xf bank_mask:0xf bound_ctrl:1// 000000004BE0: 28D6D6FA FF09186F
	s_waitcnt lgkmcnt(0)                                       // 000000004BE8: BF8CC07F
	v_max3_f32 v48, v64, v65, v48                              // 000000004BEC: D1D30030 04C28340
	v_max3_f32 v48, v66, v67, v48                              // 000000004BF4: D1D30030 04C28742
	v_max3_f32 v48, v68, v69, v48                              // 000000004BFC: D1D30030 04C28B44
	v_max3_f32 v48, v70, v71, v48                              // 000000004C04: D1D30030 04C28F46
	v_max3_f32 v48, v72, v73, v48                              // 000000004C0C: D1D30030 04C29348
	v_max3_f32 v48, v74, v75, v48                              // 000000004C14: D1D30030 04C2974A
	v_max3_f32 v48, v76, v77, v48                              // 000000004C1C: D1D30030 04C29B4C
	v_max3_f32 v48, v78, v79, v48                              // 000000004C24: D1D30030 04C29F4E
	v_cmp_eq_u32_e64 s[40:41], v52, v14                        // 000000004C2C: D0CA0028 00021D34
	s_nop 1                                                    // 000000004C34: BF800001
	v_mov_b32_dpp v38, v48 row_ror:8 row_mask:0xf bank_mask:0xf// 000000004C38: 7E4C02FA FF012830
	v_max_f32_e32 v48, v48, v38                                // 000000004C40: 16604D30
	v_max_f32_e32 v15, v48, v14                                // 000000004C44: 161E1D30
	v_mul_f32_e32 v50, s64, v15                                // 000000004C48: 0A641E40
	v_fma_f32 v88, v88, s64, -v50                              // 000000004C4C: D1CB0058 84C88158
	v_fma_f32 v89, v89, s64, -v50                              // 000000004C54: D1CB0059 84C88159
	v_fma_f32 v90, v90, s64, -v50                              // 000000004C5C: D1CB005A 84C8815A
	v_fma_f32 v91, v91, s64, -v50                              // 000000004C64: D1CB005B 84C8815B
	v_fma_f32 v92, v92, s64, -v50                              // 000000004C6C: D1CB005C 84C8815C
	v_fma_f32 v93, v93, s64, -v50                              // 000000004C74: D1CB005D 84C8815D
	v_fma_f32 v94, v94, s64, -v50                              // 000000004C7C: D1CB005E 84C8815E
	v_fma_f32 v95, v95, s64, -v50                              // 000000004C84: D1CB005F 84C8815F
	v_exp_f32_e32 v88, v88                                     // 000000004C8C: 7EB04158
	v_exp_f32_e32 v89, v89                                     // 000000004C90: 7EB24159
	v_exp_f32_e32 v90, v90                                     // 000000004C94: 7EB4415A
	v_exp_f32_e32 v91, v91                                     // 000000004C98: 7EB6415B
	v_exp_f32_e32 v92, v92                                     // 000000004C9C: 7EB8415C
	v_exp_f32_e32 v93, v93                                     // 000000004CA0: 7EBA415D
	v_exp_f32_e32 v94, v94                                     // 000000004CA4: 7EBC415E
	v_exp_f32_e32 v95, v95                                     // 000000004CA8: 7EBE415F
	v_mul_f32_dpp v116, v126, v88 quad_perm:[0,0,0,0] row_mask:0xf bank_mask:0xf// 000000004CAC: 0AE8B0FA FF00007E
	v_mul_f32_dpp v117, v126, v89 quad_perm:[1,1,1,1] row_mask:0xf bank_mask:0xf// 000000004CB4: 0AEAB2FA FF00557E
	v_mul_f32_dpp v118, v126, v90 quad_perm:[2,2,2,2] row_mask:0xf bank_mask:0xf// 000000004CBC: 0AECB4FA FF00AA7E
	v_mul_f32_dpp v119, v126, v91 quad_perm:[3,3,3,3] row_mask:0xf bank_mask:0xf// 000000004CC4: 0AEEB6FA FF00FF7E
	v_mul_f32_dpp v120, v127, v92 quad_perm:[0,0,0,0] row_mask:0xf bank_mask:0xf// 000000004CCC: 0AF0B8FA FF00007F
	v_mul_f32_dpp v121, v127, v93 quad_perm:[1,1,1,1] row_mask:0xf bank_mask:0xf// 000000004CD4: 0AF2BAFA FF00557F
	v_mul_f32_dpp v122, v127, v94 quad_perm:[2,2,2,2] row_mask:0xf bank_mask:0xf// 000000004CDC: 0AF4BCFA FF00AA7F
	v_mul_f32_dpp v123, v127, v95 quad_perm:[3,3,3,3] row_mask:0xf bank_mask:0xf// 000000004CE4: 0AF6BEFA FF00FF7F
	v_mov_b32_e32 v48, 0x358637bd                              // 000000004CEC: 7E6002FF 358637BD
	v_max3_f32 v48, |v116|, |v117|, v48                        // 000000004CF4: D1D30330 04C2EB74
	v_max3_f32 v48, |v118|, |v119|, v48                        // 000000004CFC: D1D30330 04C2EF76
	v_max3_f32 v48, |v120|, |v121|, v48                        // 000000004D04: D1D30330 04C2F378
	v_max3_f32 v48, |v122|, |v123|, v48                        // 000000004D0C: D1D30330 04C2F77A
	ds_write_b32 v11, v48 offset:5248                          // 000000004D14: D81A1480 0000300B
	v_sub_f32_e32 v49, v14, v15                                // 000000004D1C: 04621F0E
	v_cndmask_b32_e64 v49, v49, 0, s[40:41]                    // 000000004D20: D1000031 00A10131
	v_mov_b32_e32 v14, v15                                     // 000000004D28: 7E1C030F
	v_mul_f32_e32 v49, s64, v49                                // 000000004D2C: 0A626240
	v_exp_f32_e32 v49, v49                                     // 000000004D30: 7E624131
	s_waitcnt lgkmcnt(0)                                       // 000000004D34: BF8CC07F
	s_barrier                                                  // 000000004D38: BF8A0000
	ds_read_b32 v64, v10 offset:5248                           // 000000004D3C: D86C1480 4000000A
	ds_read_b32 v65, v10 offset:5312                           // 000000004D44: D86C14C0 4100000A
	ds_read_b32 v66, v10 offset:5376                           // 000000004D4C: D86C1500 4200000A
	ds_read_b32 v67, v10 offset:5440                           // 000000004D54: D86C1540 4300000A
	ds_read_b32 v68, v10 offset:5504                           // 000000004D5C: D86C1580 4400000A
	ds_read_b32 v69, v10 offset:5568                           // 000000004D64: D86C15C0 4500000A
	ds_read_b32 v70, v10 offset:5632                           // 000000004D6C: D86C1600 4600000A
	ds_read_b32 v71, v10 offset:5696                           // 000000004D74: D86C1640 4700000A
	ds_read_b32 v72, v10 offset:5760                           // 000000004D7C: D86C1680 4800000A
	ds_read_b32 v73, v10 offset:5824                           // 000000004D84: D86C16C0 4900000A
	ds_read_b32 v74, v10 offset:5888                           // 000000004D8C: D86C1700 4A00000A
	ds_read_b32 v75, v10 offset:5952                           // 000000004D94: D86C1740 4B00000A
	ds_read_b32 v76, v10 offset:6016                           // 000000004D9C: D86C1780 4C00000A
	ds_read_b32 v77, v10 offset:6080                           // 000000004DA4: D86C17C0 4D00000A
	ds_read_b32 v78, v10 offset:6144                           // 000000004DAC: D86C1800 4E00000A
	ds_read_b32 v79, v10 offset:6208                           // 000000004DB4: D86C1840 4F00000A
	v_mul_f32_e32 v42, v49, v42                                // 000000004DBC: 0A545531
	v_mov_b32_e32 v43, v88                                     // 000000004DC0: 7E560358
	v_add_f32_e32 v43, v89, v43                                // 000000004DC4: 02565759
	v_add_f32_e32 v43, v90, v43                                // 000000004DC8: 0256575A
	v_add_f32_e32 v43, v91, v43                                // 000000004DCC: 0256575B
	v_add_f32_e32 v43, v92, v43                                // 000000004DD0: 0256575C
	v_add_f32_e32 v43, v93, v43                                // 000000004DD4: 0256575D
	v_add_f32_e32 v43, v94, v43                                // 000000004DD8: 0256575E
	v_add_f32_e32 v43, v95, v43                                // 000000004DDC: 0256575F
	v_add_f32_e32 v42, v43, v42                                // 000000004DE0: 0254552B
	s_waitcnt lgkmcnt(0)                                       // 000000004DE4: BF8CC07F
	v_max3_f32 v48, |v64|, |v65|, v48                          // 000000004DE8: D1D30330 04C28340
	v_max3_f32 v48, |v66|, |v67|, v48                          // 000000004DF0: D1D30330 04C28742
	v_max3_f32 v48, |v68|, |v69|, v48                          // 000000004DF8: D1D30330 04C28B44
	v_max3_f32 v48, |v70|, |v71|, v48                          // 000000004E00: D1D30330 04C28F46
	v_max3_f32 v48, |v72|, |v73|, v48                          // 000000004E08: D1D30330 04C29348
	v_max3_f32 v48, |v74|, |v75|, v48                          // 000000004E10: D1D30330 04C2974A
	v_max3_f32 v48, |v76|, |v77|, v48                          // 000000004E18: D1D30330 04C29B4C
	v_max3_f32 v48, |v78|, |v79|, v48                          // 000000004E20: D1D30330 04C29F4E
	s_nop 2                                                    // 000000004E28: BF800002
	v_mov_b32_dpp v38, v48 row_ror:8 row_mask:0xf bank_mask:0xf// 000000004E2C: 7E4C02FA FF012830
	v_max_f32_e32 v48, v48, v38                                // 000000004E34: 16604D30
	v_rcp_f32_e32 v48, v48                                     // 000000004E38: 7E604530
	s_nop 1                                                    // 000000004E3C: BF800001
	v_mul_f32_e32 v48, 0x42fe0000, v48                         // 000000004E40: 0A6060FF 42FE0000
	v_mul_f32_e32 v88, v48, v116                               // 000000004E48: 0AB0E930
	v_mul_f32_e32 v89, v48, v117                               // 000000004E4C: 0AB2EB30
	v_mul_f32_e32 v90, v48, v118                               // 000000004E50: 0AB4ED30
	v_mul_f32_e32 v91, v48, v119                               // 000000004E54: 0AB6EF30
	v_mul_f32_e32 v92, v48, v120                               // 000000004E58: 0AB8F130
	v_mul_f32_e32 v93, v48, v121                               // 000000004E5C: 0ABAF330
	v_mul_f32_e32 v94, v48, v122                               // 000000004E60: 0ABCF530
	v_mul_f32_e32 v95, v48, v123                               // 000000004E64: 0ABEF730
	v_cvt_i32_f32_e32 v88, v88                                 // 000000004E68: 7EB01158
	v_cvt_i32_f32_e32 v89, v89                                 // 000000004E6C: 7EB21159
	v_cvt_i32_f32_e32 v90, v90                                 // 000000004E70: 7EB4115A
	v_cvt_i32_f32_e32 v91, v91                                 // 000000004E74: 7EB6115B
	v_cvt_i32_f32_e32 v92, v92                                 // 000000004E78: 7EB8115C
	v_cvt_i32_f32_e32 v93, v93                                 // 000000004E7C: 7EBA115D
	v_cvt_i32_f32_e32 v94, v94                                 // 000000004E80: 7EBC115E
	v_cvt_i32_f32_e32 v95, v95                                 // 000000004E84: 7EBE115F
	v_perm_b32 v88, v89, v88, s53                              // 000000004E88: D1ED0058 00D6B159
	v_perm_b32 v88, v90, v88, s54                              // 000000004E90: D1ED0058 00DAB15A
	v_perm_b32 v88, v91, v88, s55                              // 000000004E98: D1ED0058 00DEB15B
	v_perm_b32 v89, v93, v92, s53                              // 000000004EA0: D1ED0059 00D6B95D
	v_perm_b32 v89, v94, v89, s54                              // 000000004EA8: D1ED0059 00DAB35E
	v_perm_b32 v89, v95, v89, s55                              // 000000004EB0: D1ED0059 00DEB35F
	ds_write_b32 v13, v88 offset:6272                          // 000000004EB8: D81A1880 0000580D
	ds_write_b32 v13, v89 offset:7296                          // 000000004EC0: D81A1C80 0000590D
	v_cvt_f32_i32_e32 v104, v104                               // 000000004EC8: 7ED00B68
	v_cvt_f32_i32_e32 v105, v105                               // 000000004ECC: 7ED20B69
	v_cvt_f32_i32_e32 v106, v106                               // 000000004ED0: 7ED40B6A
	v_cvt_f32_i32_e32 v107, v107                               // 000000004ED4: 7ED60B6B
	v_mul_f32_e32 v104, v47, v104                              // 000000004ED8: 0AD0D12F
	v_mul_f32_e32 v105, v47, v105                              // 000000004EDC: 0AD2D32F
	v_mul_f32_e32 v106, v47, v106                              // 000000004EE0: 0AD4D52F
	v_mul_f32_e32 v107, v47, v107                              // 000000004EE4: 0AD6D72F
	v_rcp_f32_e32 v47, v48                                     // 000000004EE8: 7E5E4530
	s_waitcnt lgkmcnt(0)                                       // 000000004EEC: BF8CC07F
	s_barrier                                                  // 000000004EF0: BF8A0000
	ds_read_b64 v[88:89], v12 offset:6272                      // 000000004EF4: D8EC1880 5800000C
	ds_read_b64 v[90:91], v12 offset:6400                      // 000000004EFC: D8EC1900 5A00000C
	ds_read_b64 v[92:93], v12 offset:7296                      // 000000004F04: D8EC1C80 5C00000C
	ds_read_b64 v[94:95], v12 offset:7424                      // 000000004F0C: D8EC1D00 5E00000C
	v_add_f32_e32 v112, v112, v104                             // 000000004F14: 02E0D170
	v_add_f32_e32 v113, v113, v105                             // 000000004F18: 02E2D371
	v_add_f32_e32 v114, v114, v106                             // 000000004F1C: 02E4D572
	v_add_f32_e32 v115, v115, v107                             // 000000004F20: 02E6D773
	s_waitcnt lgkmcnt(3)                                       // 000000004F24: BF8CC37F
	v_mov_b32_dpp v96, v88 row_shl:8 row_mask:0xf bank_mask:0xf bound_ctrl:1// 000000004F28: 7EC002FA FF090858
	v_and_b32_e32 v88, v88, v9                                 // 000000004F30: 26B01358
	v_mov_b32_dpp v97, v89 row_shl:8 row_mask:0xf bank_mask:0xf bound_ctrl:1// 000000004F34: 7EC202FA FF090859
	v_and_b32_e32 v89, v89, v9                                 // 000000004F3C: 26B21359
	s_waitcnt lgkmcnt(2)                                       // 000000004F40: BF8CC27F
	v_mov_b32_dpp v98, v90 row_shl:8 row_mask:0xf bank_mask:0xf bound_ctrl:1// 000000004F44: 7EC402FA FF09085A
	v_and_b32_e32 v90, v90, v9                                 // 000000004F4C: 26B4135A
	v_mov_b32_dpp v99, v91 row_shl:8 row_mask:0xf bank_mask:0xf bound_ctrl:1// 000000004F50: 7EC602FA FF09085B
	v_and_b32_e32 v91, v91, v9                                 // 000000004F58: 26B6135B
	s_waitcnt lgkmcnt(1)                                       // 000000004F5C: BF8CC17F
	v_mov_b32_dpp v100, v92 row_shl:8 row_mask:0xf bank_mask:0xf bound_ctrl:1// 000000004F60: 7EC802FA FF09085C
	v_and_b32_e32 v92, v92, v9                                 // 000000004F68: 26B8135C
	v_mov_b32_dpp v101, v93 row_shl:8 row_mask:0xf bank_mask:0xf bound_ctrl:1// 000000004F6C: 7ECA02FA FF09085D
	v_and_b32_e32 v93, v93, v9                                 // 000000004F74: 26BA135D
	s_waitcnt lgkmcnt(0)                                       // 000000004F78: BF8CC07F
	v_mov_b32_dpp v102, v94 row_shl:8 row_mask:0xf bank_mask:0xf bound_ctrl:1// 000000004F7C: 7ECC02FA FF09085E
	v_and_b32_e32 v94, v94, v9                                 // 000000004F84: 26BC135E
	v_mov_b32_dpp v103, v95 row_shl:8 row_mask:0xf bank_mask:0xf bound_ctrl:1// 000000004F88: 7ECE02FA FF09085F
	v_and_b32_e32 v95, v95, v9                                 // 000000004F90: 26BE135F
	s_waitcnt vmcnt(0)                                         // 000000004F94: BF8C0F70
	s_barrier                                                  // 000000004F98: BF8A0000
	v_mfma_i32_16x16x32_i8 v[104:107], a[64:65], v[88:89], 0   // 000000004F9C: D3D70068 0A02B140
	v_mfma_i32_16x16x32_i8 v[104:107], a[66:67], v[90:91], v[104:107]// 000000004FA4: D3D70068 0DA2B542
	v_mfma_i32_16x16x32_i8 v[104:107], a[68:69], v[92:93], v[104:107]// 000000004FAC: D3D70068 0DA2B944
	v_mfma_i32_16x16x32_i8 v[104:107], a[70:71], v[94:95], v[104:107]// 000000004FB4: D3D70068 0DA2BD46
	v_mfma_i32_16x16x32_i8 v[104:107], a[72:73], v[96:97], v[104:107]// 000000004FBC: D3D70068 0DA2C148
	v_mfma_i32_16x16x32_i8 v[104:107], a[74:75], v[98:99], v[104:107]// 000000004FC4: D3D70068 0DA2C54A
	v_mfma_i32_16x16x32_i8 v[104:107], a[76:77], v[100:101], v[104:107]// 000000004FCC: D3D70068 0DA2C94C
	v_mfma_i32_16x16x32_i8 v[104:107], a[78:79], v[102:103], v[104:107]// 000000004FD4: D3D70068 0DA2CD4E
	v_mfma_i32_16x16x32_i8 v[108:111], a[80:81], v[88:89], 0   // 000000004FDC: D3D7006C 0A02B150
	v_mfma_i32_16x16x32_i8 v[108:111], a[82:83], v[90:91], v[108:111]// 000000004FE4: D3D7006C 0DB2B552
	v_mfma_i32_16x16x32_i8 v[108:111], a[84:85], v[92:93], v[108:111]// 000000004FEC: D3D7006C 0DB2B954
	v_mfma_i32_16x16x32_i8 v[108:111], a[86:87], v[94:95], v[108:111]// 000000004FF4: D3D7006C 0DB2BD56
	v_mfma_i32_16x16x32_i8 v[108:111], a[88:89], v[96:97], v[108:111]// 000000004FFC: D3D7006C 0DB2C158
	v_mfma_i32_16x16x32_i8 v[108:111], a[90:91], v[98:99], v[108:111]// 000000005004: D3D7006C 0DB2C55A
	v_mfma_i32_16x16x32_i8 v[108:111], a[92:93], v[100:101], v[108:111]// 00000000500C: D3D7006C 0DB2C95C
	v_mfma_i32_16x16x32_i8 v[108:111], a[94:95], v[102:103], v[108:111]// 000000005014: D3D7006C 0DB2CD5E
	s_nop 4                                                    // 00000000501C: BF800004
	s_branch label_0DBE                                        // 000000005020: BF8201F5

0000000000005024 <label_0BC9>:
	s_waitcnt vmcnt(8) lgkmcnt(0)                              // 000000005024: BF8C0078
	s_barrier                                                  // 000000005028: BF8A0000
	v_mfma_i32_16x16x32_i8 v[88:91], a[32:33], v[80:81], 0     // 00000000502C: D3D70058 0A02A120
	v_mfma_i32_16x16x32_i8 v[88:91], a[34:35], v[82:83], v[88:91]// 000000005034: D3D70058 0D62A522
	v_mfma_i32_16x16x32_i8 v[88:91], a[36:37], v[84:85], v[88:91]// 00000000503C: D3D70058 0D62A924
	v_mfma_i32_16x16x32_i8 v[88:91], a[38:39], v[86:87], v[88:91]// 000000005044: D3D70058 0D62AD26
	v_mfma_i32_16x16x32_i8 v[92:95], a[40:41], v[80:81], 0     // 00000000504C: D3D7005C 0A02A128
	v_mfma_i32_16x16x32_i8 v[92:95], a[42:43], v[82:83], v[92:95]// 000000005054: D3D7005C 0D72A52A
	v_mfma_i32_16x16x32_i8 v[92:95], a[44:45], v[84:85], v[92:95]// 00000000505C: D3D7005C 0D72A92C
	v_mfma_i32_16x16x32_i8 v[92:95], a[46:47], v[86:87], v[92:95]// 000000005064: D3D7005C 0D72AD2E
	v_mfma_i32_16x16x32_i8 v[96:99], a[48:49], v[80:81], 0     // 00000000506C: D3D70060 0A02A130
	v_mfma_i32_16x16x32_i8 v[96:99], a[50:51], v[82:83], v[96:99]// 000000005074: D3D70060 0D82A532
	v_mfma_i32_16x16x32_i8 v[96:99], a[52:53], v[84:85], v[96:99]// 00000000507C: D3D70060 0D82A934
	v_mfma_i32_16x16x32_i8 v[96:99], a[54:55], v[86:87], v[96:99]// 000000005084: D3D70060 0D82AD36
	v_mfma_i32_16x16x32_i8 v[100:103], a[56:57], v[80:81], 0   // 00000000508C: D3D70064 0A02A138
	v_mfma_i32_16x16x32_i8 v[100:103], a[58:59], v[82:83], v[100:103]// 000000005094: D3D70064 0D92A53A
	v_mfma_i32_16x16x32_i8 v[100:103], a[60:61], v[84:85], v[100:103]// 00000000509C: D3D70064 0D92A93C
	v_mfma_i32_16x16x32_i8 v[100:103], a[62:63], v[86:87], v[100:103]// 0000000050A4: D3D70064 0D92AD3E
	v_mov_b32_dpp v38, v45 row_shr:4 row_mask:0xf bank_mask:0xf// 0000000050AC: 7E4C02FA FF01142D
	v_mov_b32_dpp v39, v45 row_shl:4 row_mask:0xf bank_mask:0xf// 0000000050B4: 7E4E02FA FF01042D
	v_cndmask_b32_e64 v124, v45, v38, s[44:45]                 // 0000000050BC: D100007C 00B24D2D
	v_cndmask_b32_e64 v125, v39, v45, s[44:45]                 // 0000000050C4: D100007D 00B25B27
	v_mov_b32_dpp v38, v56 row_shr:4 row_mask:0xf bank_mask:0xf// 0000000050CC: 7E4C02FA FF011438
	v_mov_b32_dpp v39, v56 row_shl:4 row_mask:0xf bank_mask:0xf// 0000000050D4: 7E4E02FA FF010438
	v_cndmask_b32_e64 v126, v56, v38, s[44:45]                 // 0000000050DC: D100007E 00B24D38
	v_cndmask_b32_e64 v127, v39, v56, s[44:45]                 // 0000000050E4: D100007F 00B27127
	v_or_b32_dpp v88, v96, v88 row_shr:8 row_mask:0xf bank_mask:0xf bound_ctrl:1// 0000000050EC: 28B0B0FA FF091860
	v_or_b32_dpp v89, v97, v89 row_shr:8 row_mask:0xf bank_mask:0xf bound_ctrl:1// 0000000050F4: 28B2B2FA FF091861
	v_or_b32_dpp v90, v98, v90 row_shr:8 row_mask:0xf bank_mask:0xf bound_ctrl:1// 0000000050FC: 28B4B4FA FF091862
	v_or_b32_dpp v91, v99, v91 row_shr:8 row_mask:0xf bank_mask:0xf bound_ctrl:1// 000000005104: 28B6B6FA FF091863
	v_or_b32_dpp v92, v100, v92 row_shr:8 row_mask:0xf bank_mask:0xf bound_ctrl:1// 00000000510C: 28B8B8FA FF091864
	v_or_b32_dpp v93, v101, v93 row_shr:8 row_mask:0xf bank_mask:0xf bound_ctrl:1// 000000005114: 28BABAFA FF091865
	v_or_b32_dpp v94, v102, v94 row_shr:8 row_mask:0xf bank_mask:0xf bound_ctrl:1// 00000000511C: 28BCBCFA FF091866
	v_or_b32_dpp v95, v103, v95 row_shr:8 row_mask:0xf bank_mask:0xf bound_ctrl:1// 000000005124: 28BEBEFA FF091867
	v_cvt_f32_i32_e32 v88, v88                                 // 00000000512C: 7EB00B58
	v_cvt_f32_i32_e32 v89, v89                                 // 000000005130: 7EB20B59
	v_cvt_f32_i32_e32 v90, v90                                 // 000000005134: 7EB40B5A
	v_cvt_f32_i32_e32 v91, v91                                 // 000000005138: 7EB60B5B
	v_cvt_f32_i32_e32 v92, v92                                 // 00000000513C: 7EB80B5C
	v_cvt_f32_i32_e32 v93, v93                                 // 000000005140: 7EBA0B5D
	v_cvt_f32_i32_e32 v94, v94                                 // 000000005144: 7EBC0B5E
	v_cvt_f32_i32_e32 v95, v95                                 // 000000005148: 7EBE0B5F
	v_mul_f32_e32 v88, v46, v88                                // 00000000514C: 0AB0B12E
	v_mul_f32_e32 v89, v46, v89                                // 000000005150: 0AB2B32E
	v_mul_f32_e32 v90, v46, v90                                // 000000005154: 0AB4B52E
	v_mul_f32_e32 v91, v46, v91                                // 000000005158: 0AB6B72E
	v_mul_f32_e32 v92, v46, v92                                // 00000000515C: 0AB8B92E
	v_mul_f32_e32 v93, v46, v93                                // 000000005160: 0ABABB2E
	v_mul_f32_e32 v94, v46, v94                                // 000000005164: 0ABCBD2E
	v_mul_f32_e32 v95, v46, v95                                // 000000005168: 0ABEBF2E
	v_mul_f32_dpp v88, v124, v88 quad_perm:[0,0,0,0] row_mask:0xf bank_mask:0xf// 00000000516C: 0AB0B0FA FF00007C
	v_mul_f32_dpp v89, v124, v89 quad_perm:[1,1,1,1] row_mask:0xf bank_mask:0xf// 000000005174: 0AB2B2FA FF00557C
	v_mul_f32_dpp v90, v124, v90 quad_perm:[2,2,2,2] row_mask:0xf bank_mask:0xf// 00000000517C: 0AB4B4FA FF00AA7C
	v_mul_f32_dpp v91, v124, v91 quad_perm:[3,3,3,3] row_mask:0xf bank_mask:0xf// 000000005184: 0AB6B6FA FF00FF7C
	v_mul_f32_dpp v92, v125, v92 quad_perm:[0,0,0,0] row_mask:0xf bank_mask:0xf// 00000000518C: 0AB8B8FA FF00007D
	v_mul_f32_dpp v93, v125, v93 quad_perm:[1,1,1,1] row_mask:0xf bank_mask:0xf// 000000005194: 0ABABAFA FF00557D
	v_mul_f32_dpp v94, v125, v94 quad_perm:[2,2,2,2] row_mask:0xf bank_mask:0xf// 00000000519C: 0ABCBCFA FF00AA7D
	v_mul_f32_dpp v95, v125, v95 quad_perm:[3,3,3,3] row_mask:0xf bank_mask:0xf// 0000000051A4: 0ABEBEFA FF00FF7D
	s_and_b32 s60, s72, 0xff                                   // 0000000051AC: 863CFF48 000000FF
	v_mov_b32_e32 v62, s60                                     // 0000000051B4: 7E7C023C
	v_lshrrev_b32_e32 v116, 4, v0                              // 0000000051B8: 20E80084
	v_mul_i32_i24_e32 v116, 4, v116                            // 0000000051BC: 0CE8E884
	v_and_b32_e32 v38, 15, v0                                  // 0000000051C0: 264C008F
	v_lshrrev_b32_e32 v38, 3, v38                              // 0000000051C4: 204C4C83
	v_mul_i32_i24_e32 v38, 0x80, v38                           // 0000000051C8: 0C4C4CFF 00000080
	v_add_u32_e32 v116, v38, v116                              // 0000000051D0: 68E8E926
	s_mul_i32 s60, s7, 16                                      // 0000000051D4: 923C9007
	v_add_u32_e32 v116, s60, v116                              // 0000000051D8: 68E8E83C
	v_add_u32_e32 v117, 1, v116                                // 0000000051DC: 68EAE881
	v_add_u32_e32 v118, 2, v116                                // 0000000051E0: 68ECE882
	v_add_u32_e32 v119, 3, v116                                // 0000000051E4: 68EEE883
	v_cmp_lt_u32_e64 s[40:41], v116, v62                       // 0000000051E8: D0C90028 00027D74
	v_add_u32_e32 v116, 64, v116                               // 0000000051F0: 68E8E8C0
	s_nop 0                                                    // 0000000051F4: BF800000
	v_cndmask_b32_e64 v88, v52, v88, s[40:41]                  // 0000000051F8: D1000058 00A2B134
	v_cmp_lt_u32_e64 s[40:41], v117, v62                       // 000000005200: D0C90028 00027D75
	v_add_u32_e32 v117, 64, v117                               // 000000005208: 68EAEAC0
	s_nop 0                                                    // 00000000520C: BF800000
	v_cndmask_b32_e64 v89, v52, v89, s[40:41]                  // 000000005210: D1000059 00A2B334
	v_cmp_lt_u32_e64 s[40:41], v118, v62                       // 000000005218: D0C90028 00027D76
	v_add_u32_e32 v118, 64, v118                               // 000000005220: 68ECECC0
	s_nop 0                                                    // 000000005224: BF800000
	v_cndmask_b32_e64 v90, v52, v90, s[40:41]                  // 000000005228: D100005A 00A2B534
	v_cmp_lt_u32_e64 s[40:41], v119, v62                       // 000000005230: D0C90028 00027D77
	v_add_u32_e32 v119, 64, v119                               // 000000005238: 68EEEEC0
	s_nop 0                                                    // 00000000523C: BF800000
	v_cndmask_b32_e64 v91, v52, v91, s[40:41]                  // 000000005240: D100005B 00A2B734
	v_cmp_lt_u32_e64 s[40:41], v116, v62                       // 000000005248: D0C90028 00027D74
	v_add_u32_e32 v116, 64, v116                               // 000000005250: 68E8E8C0
	s_nop 0                                                    // 000000005254: BF800000
	v_cndmask_b32_e64 v92, v52, v92, s[40:41]                  // 000000005258: D100005C 00A2B934
	v_cmp_lt_u32_e64 s[40:41], v117, v62                       // 000000005260: D0C90028 00027D75
	v_add_u32_e32 v117, 64, v117                               // 000000005268: 68EAEAC0
	s_nop 0                                                    // 00000000526C: BF800000
	v_cndmask_b32_e64 v93, v52, v93, s[40:41]                  // 000000005270: D100005D 00A2BB34
	v_cmp_lt_u32_e64 s[40:41], v118, v62                       // 000000005278: D0C90028 00027D76
	v_add_u32_e32 v118, 64, v118                               // 000000005280: 68ECECC0
	s_nop 0                                                    // 000000005284: BF800000
	v_cndmask_b32_e64 v94, v52, v94, s[40:41]                  // 000000005288: D100005E 00A2BD34
	v_cmp_lt_u32_e64 s[40:41], v119, v62                       // 000000005290: D0C90028 00027D77
	v_add_u32_e32 v119, 64, v119                               // 000000005298: 68EEEEC0
	s_nop 0                                                    // 00000000529C: BF800000
	v_cndmask_b32_e64 v95, v52, v95, s[40:41]                  // 0000000052A0: D100005F 00A2BF34
	v_mov_b32_e32 v48, v88                                     // 0000000052A8: 7E600358
	v_max3_f32 v48, v88, v89, v48                              // 0000000052AC: D1D30030 04C2B358
	v_max3_f32 v48, v90, v91, v48                              // 0000000052B4: D1D30030 04C2B75A
	v_max3_f32 v48, v92, v93, v48                              // 0000000052BC: D1D30030 04C2BB5C
	v_max3_f32 v48, v94, v95, v48                              // 0000000052C4: D1D30030 04C2BF5E
	ds_write_b32 v11, v48 offset:4224                          // 0000000052CC: D81A1080 0000300B
	v_mul_u32_u24_dpp v38, v16, v51 row_newbcast:1 row_mask:0xf bank_mask:0xf// 0000000052D4: 104C66FA FF015110
	v_mul_u32_u24_dpp v39, v16, v51 row_newbcast:5 row_mask:0xf bank_mask:0xf// 0000000052DC: 104E66FA FF015510
	v_mul_u32_u24_dpp v40, v16, v51 row_newbcast:9 row_mask:0xf bank_mask:0xf// 0000000052E4: 105066FA FF015910
	v_mul_u32_u24_dpp v41, v16, v51 row_newbcast:13 row_mask:0xf bank_mask:0xf// 0000000052EC: 105266FA FF015D10
	v_add_u32_e32 v30, v38, v7                                 // 0000000052F4: 683C0F26
	v_add_u32_e32 v31, v39, v7                                 // 0000000052F8: 683E0F27
	v_add_u32_e32 v32, v40, v7                                 // 0000000052FC: 68400F28
	v_add_u32_e32 v33, v41, v7                                 // 000000005300: 68420F29
	s_waitcnt lgkmcnt(0)                                       // 000000005304: BF8CC07F
	s_barrier                                                  // 000000005308: BF8A0000
	ds_read_b32 v64, v10 offset:4224                           // 00000000530C: D86C1080 4000000A
	ds_read_b32 v65, v10 offset:4288                           // 000000005314: D86C10C0 4100000A
	ds_read_b32 v66, v10 offset:4352                           // 00000000531C: D86C1100 4200000A
	ds_read_b32 v67, v10 offset:4416                           // 000000005324: D86C1140 4300000A
	ds_read_b32 v68, v10 offset:4480                           // 00000000532C: D86C1180 4400000A
	ds_read_b32 v69, v10 offset:4544                           // 000000005334: D86C11C0 4500000A
	ds_read_b32 v70, v10 offset:4608                           // 00000000533C: D86C1200 4600000A
	ds_read_b32 v71, v10 offset:4672                           // 000000005344: D86C1240 4700000A
	ds_read_b32 v72, v10 offset:4736                           // 00000000534C: D86C1280 4800000A
	ds_read_b32 v73, v10 offset:4800                           // 000000005354: D86C12C0 4900000A
	ds_read_b32 v74, v10 offset:4864                           // 00000000535C: D86C1300 4A00000A
	ds_read_b32 v75, v10 offset:4928                           // 000000005364: D86C1340 4B00000A
	ds_read_b32 v76, v10 offset:4992                           // 00000000536C: D86C1380 4C00000A
	ds_read_b32 v77, v10 offset:5056                           // 000000005374: D86C13C0 4D00000A
	ds_read_b32 v78, v10 offset:5120                           // 00000000537C: D86C1400 4E00000A
	ds_read_b32 v79, v10 offset:5184                           // 000000005384: D86C1440 4F00000A
	v_mul_f32_e32 v112, v49, v112                              // 00000000538C: 0AE0E131
	v_mul_f32_e32 v113, v49, v113                              // 000000005390: 0AE2E331
	v_mul_f32_e32 v114, v49, v114                              // 000000005394: 0AE4E531
	v_mul_f32_e32 v115, v49, v115                              // 000000005398: 0AE6E731
	v_or_b32_dpp v104, v108, v104 row_shr:8 row_mask:0xf bank_mask:0xf bound_ctrl:1// 00000000539C: 28D0D0FA FF09186C
	v_or_b32_dpp v105, v109, v105 row_shr:8 row_mask:0xf bank_mask:0xf bound_ctrl:1// 0000000053A4: 28D2D2FA FF09186D
	v_or_b32_dpp v106, v110, v106 row_shr:8 row_mask:0xf bank_mask:0xf bound_ctrl:1// 0000000053AC: 28D4D4FA FF09186E
	v_or_b32_dpp v107, v111, v107 row_shr:8 row_mask:0xf bank_mask:0xf bound_ctrl:1// 0000000053B4: 28D6D6FA FF09186F
	s_waitcnt lgkmcnt(0)                                       // 0000000053BC: BF8CC07F
	v_max3_f32 v48, v64, v65, v48                              // 0000000053C0: D1D30030 04C28340
	v_max3_f32 v48, v66, v67, v48                              // 0000000053C8: D1D30030 04C28742
	v_max3_f32 v48, v68, v69, v48                              // 0000000053D0: D1D30030 04C28B44
	v_max3_f32 v48, v70, v71, v48                              // 0000000053D8: D1D30030 04C28F46
	v_max3_f32 v48, v72, v73, v48                              // 0000000053E0: D1D30030 04C29348
	v_max3_f32 v48, v74, v75, v48                              // 0000000053E8: D1D30030 04C2974A
	v_max3_f32 v48, v76, v77, v48                              // 0000000053F0: D1D30030 04C29B4C
	v_max3_f32 v48, v78, v79, v48                              // 0000000053F8: D1D30030 04C29F4E
	v_cmp_eq_u32_e64 s[40:41], v52, v14                        // 000000005400: D0CA0028 00021D34
	s_nop 1                                                    // 000000005408: BF800001
	v_mov_b32_dpp v38, v48 row_ror:8 row_mask:0xf bank_mask:0xf// 00000000540C: 7E4C02FA FF012830
	v_max_f32_e32 v48, v48, v38                                // 000000005414: 16604D30
	v_max_f32_e32 v15, v48, v14                                // 000000005418: 161E1D30
	v_mul_f32_e32 v50, s64, v15                                // 00000000541C: 0A641E40
	v_fma_f32 v88, v88, s64, -v50                              // 000000005420: D1CB0058 84C88158
	v_fma_f32 v89, v89, s64, -v50                              // 000000005428: D1CB0059 84C88159
	v_fma_f32 v90, v90, s64, -v50                              // 000000005430: D1CB005A 84C8815A
	v_fma_f32 v91, v91, s64, -v50                              // 000000005438: D1CB005B 84C8815B
	v_fma_f32 v92, v92, s64, -v50                              // 000000005440: D1CB005C 84C8815C
	v_fma_f32 v93, v93, s64, -v50                              // 000000005448: D1CB005D 84C8815D
	v_fma_f32 v94, v94, s64, -v50                              // 000000005450: D1CB005E 84C8815E
	v_fma_f32 v95, v95, s64, -v50                              // 000000005458: D1CB005F 84C8815F
	v_exp_f32_e32 v88, v88                                     // 000000005460: 7EB04158
	v_exp_f32_e32 v89, v89                                     // 000000005464: 7EB24159
	v_exp_f32_e32 v90, v90                                     // 000000005468: 7EB4415A
	v_exp_f32_e32 v91, v91                                     // 00000000546C: 7EB6415B
	v_exp_f32_e32 v92, v92                                     // 000000005470: 7EB8415C
	v_exp_f32_e32 v93, v93                                     // 000000005474: 7EBA415D
	v_exp_f32_e32 v94, v94                                     // 000000005478: 7EBC415E
	v_exp_f32_e32 v95, v95                                     // 00000000547C: 7EBE415F
	v_mul_f32_dpp v116, v126, v88 quad_perm:[0,0,0,0] row_mask:0xf bank_mask:0xf// 000000005480: 0AE8B0FA FF00007E
	v_mul_f32_dpp v117, v126, v89 quad_perm:[1,1,1,1] row_mask:0xf bank_mask:0xf// 000000005488: 0AEAB2FA FF00557E
	v_mul_f32_dpp v118, v126, v90 quad_perm:[2,2,2,2] row_mask:0xf bank_mask:0xf// 000000005490: 0AECB4FA FF00AA7E
	v_mul_f32_dpp v119, v126, v91 quad_perm:[3,3,3,3] row_mask:0xf bank_mask:0xf// 000000005498: 0AEEB6FA FF00FF7E
	v_mul_f32_dpp v120, v127, v92 quad_perm:[0,0,0,0] row_mask:0xf bank_mask:0xf// 0000000054A0: 0AF0B8FA FF00007F
	v_mul_f32_dpp v121, v127, v93 quad_perm:[1,1,1,1] row_mask:0xf bank_mask:0xf// 0000000054A8: 0AF2BAFA FF00557F
	v_mul_f32_dpp v122, v127, v94 quad_perm:[2,2,2,2] row_mask:0xf bank_mask:0xf// 0000000054B0: 0AF4BCFA FF00AA7F
	v_mul_f32_dpp v123, v127, v95 quad_perm:[3,3,3,3] row_mask:0xf bank_mask:0xf// 0000000054B8: 0AF6BEFA FF00FF7F
	v_mov_b32_e32 v48, 0x358637bd                              // 0000000054C0: 7E6002FF 358637BD
	v_max3_f32 v48, |v116|, |v117|, v48                        // 0000000054C8: D1D30330 04C2EB74
	v_max3_f32 v48, |v118|, |v119|, v48                        // 0000000054D0: D1D30330 04C2EF76
	v_max3_f32 v48, |v120|, |v121|, v48                        // 0000000054D8: D1D30330 04C2F378
	v_max3_f32 v48, |v122|, |v123|, v48                        // 0000000054E0: D1D30330 04C2F77A
	ds_write_b32 v11, v48 offset:5248                          // 0000000054E8: D81A1480 0000300B
	v_sub_f32_e32 v49, v14, v15                                // 0000000054F0: 04621F0E
	v_cndmask_b32_e64 v49, v49, 0, s[40:41]                    // 0000000054F4: D1000031 00A10131
	v_mov_b32_e32 v14, v15                                     // 0000000054FC: 7E1C030F
	v_mul_f32_e32 v49, s64, v49                                // 000000005500: 0A626240
	v_exp_f32_e32 v49, v49                                     // 000000005504: 7E624131
	s_waitcnt lgkmcnt(0)                                       // 000000005508: BF8CC07F
	s_barrier                                                  // 00000000550C: BF8A0000
	ds_read_b32 v64, v10 offset:5248                           // 000000005510: D86C1480 4000000A
	ds_read_b32 v65, v10 offset:5312                           // 000000005518: D86C14C0 4100000A
	ds_read_b32 v66, v10 offset:5376                           // 000000005520: D86C1500 4200000A
	ds_read_b32 v67, v10 offset:5440                           // 000000005528: D86C1540 4300000A
	ds_read_b32 v68, v10 offset:5504                           // 000000005530: D86C1580 4400000A
	ds_read_b32 v69, v10 offset:5568                           // 000000005538: D86C15C0 4500000A
	ds_read_b32 v70, v10 offset:5632                           // 000000005540: D86C1600 4600000A
	ds_read_b32 v71, v10 offset:5696                           // 000000005548: D86C1640 4700000A
	ds_read_b32 v72, v10 offset:5760                           // 000000005550: D86C1680 4800000A
	ds_read_b32 v73, v10 offset:5824                           // 000000005558: D86C16C0 4900000A
	ds_read_b32 v74, v10 offset:5888                           // 000000005560: D86C1700 4A00000A
	ds_read_b32 v75, v10 offset:5952                           // 000000005568: D86C1740 4B00000A
	ds_read_b32 v76, v10 offset:6016                           // 000000005570: D86C1780 4C00000A
	ds_read_b32 v77, v10 offset:6080                           // 000000005578: D86C17C0 4D00000A
	ds_read_b32 v78, v10 offset:6144                           // 000000005580: D86C1800 4E00000A
	ds_read_b32 v79, v10 offset:6208                           // 000000005588: D86C1840 4F00000A
	v_mul_f32_e32 v42, v49, v42                                // 000000005590: 0A545531
	v_mov_b32_e32 v43, v88                                     // 000000005594: 7E560358
	v_add_f32_e32 v43, v89, v43                                // 000000005598: 02565759
	v_add_f32_e32 v43, v90, v43                                // 00000000559C: 0256575A
	v_add_f32_e32 v43, v91, v43                                // 0000000055A0: 0256575B
	v_add_f32_e32 v43, v92, v43                                // 0000000055A4: 0256575C
	v_add_f32_e32 v43, v93, v43                                // 0000000055A8: 0256575D
	v_add_f32_e32 v43, v94, v43                                // 0000000055AC: 0256575E
	v_add_f32_e32 v43, v95, v43                                // 0000000055B0: 0256575F
	v_add_f32_e32 v42, v43, v42                                // 0000000055B4: 0254552B
	s_waitcnt lgkmcnt(0)                                       // 0000000055B8: BF8CC07F
	v_max3_f32 v48, |v64|, |v65|, v48                          // 0000000055BC: D1D30330 04C28340
	v_max3_f32 v48, |v66|, |v67|, v48                          // 0000000055C4: D1D30330 04C28742
	v_max3_f32 v48, |v68|, |v69|, v48                          // 0000000055CC: D1D30330 04C28B44
	v_max3_f32 v48, |v70|, |v71|, v48                          // 0000000055D4: D1D30330 04C28F46
	v_max3_f32 v48, |v72|, |v73|, v48                          // 0000000055DC: D1D30330 04C29348
	v_max3_f32 v48, |v74|, |v75|, v48                          // 0000000055E4: D1D30330 04C2974A
	v_max3_f32 v48, |v76|, |v77|, v48                          // 0000000055EC: D1D30330 04C29B4C
	v_max3_f32 v48, |v78|, |v79|, v48                          // 0000000055F4: D1D30330 04C29F4E
	s_nop 2                                                    // 0000000055FC: BF800002
	v_mov_b32_dpp v38, v48 row_ror:8 row_mask:0xf bank_mask:0xf// 000000005600: 7E4C02FA FF012830
	v_max_f32_e32 v48, v48, v38                                // 000000005608: 16604D30
	v_rcp_f32_e32 v48, v48                                     // 00000000560C: 7E604530
	s_nop 1                                                    // 000000005610: BF800001
	v_mul_f32_e32 v48, 0x42fe0000, v48                         // 000000005614: 0A6060FF 42FE0000
	v_mul_f32_e32 v88, v48, v116                               // 00000000561C: 0AB0E930
	v_mul_f32_e32 v89, v48, v117                               // 000000005620: 0AB2EB30
	v_mul_f32_e32 v90, v48, v118                               // 000000005624: 0AB4ED30
	v_mul_f32_e32 v91, v48, v119                               // 000000005628: 0AB6EF30
	v_mul_f32_e32 v92, v48, v120                               // 00000000562C: 0AB8F130
	v_mul_f32_e32 v93, v48, v121                               // 000000005630: 0ABAF330
	v_mul_f32_e32 v94, v48, v122                               // 000000005634: 0ABCF530
	v_mul_f32_e32 v95, v48, v123                               // 000000005638: 0ABEF730
	v_cvt_i32_f32_e32 v88, v88                                 // 00000000563C: 7EB01158
	v_cvt_i32_f32_e32 v89, v89                                 // 000000005640: 7EB21159
	v_cvt_i32_f32_e32 v90, v90                                 // 000000005644: 7EB4115A
	v_cvt_i32_f32_e32 v91, v91                                 // 000000005648: 7EB6115B
	v_cvt_i32_f32_e32 v92, v92                                 // 00000000564C: 7EB8115C
	v_cvt_i32_f32_e32 v93, v93                                 // 000000005650: 7EBA115D
	v_cvt_i32_f32_e32 v94, v94                                 // 000000005654: 7EBC115E
	v_cvt_i32_f32_e32 v95, v95                                 // 000000005658: 7EBE115F
	v_perm_b32 v88, v89, v88, s53                              // 00000000565C: D1ED0058 00D6B159
	v_perm_b32 v88, v90, v88, s54                              // 000000005664: D1ED0058 00DAB15A
	v_perm_b32 v88, v91, v88, s55                              // 00000000566C: D1ED0058 00DEB15B
	v_perm_b32 v89, v93, v92, s53                              // 000000005674: D1ED0059 00D6B95D
	v_perm_b32 v89, v94, v89, s54                              // 00000000567C: D1ED0059 00DAB35E
	v_perm_b32 v89, v95, v89, s55                              // 000000005684: D1ED0059 00DEB35F
	ds_write_b32 v13, v88 offset:6272                          // 00000000568C: D81A1880 0000580D
	ds_write_b32 v13, v89 offset:7296                          // 000000005694: D81A1C80 0000590D
	v_cvt_f32_i32_e32 v104, v104                               // 00000000569C: 7ED00B68
	v_cvt_f32_i32_e32 v105, v105                               // 0000000056A0: 7ED20B69
	v_cvt_f32_i32_e32 v106, v106                               // 0000000056A4: 7ED40B6A
	v_cvt_f32_i32_e32 v107, v107                               // 0000000056A8: 7ED60B6B
	v_mul_f32_e32 v104, v47, v104                              // 0000000056AC: 0AD0D12F
	v_mul_f32_e32 v105, v47, v105                              // 0000000056B0: 0AD2D32F
	v_mul_f32_e32 v106, v47, v106                              // 0000000056B4: 0AD4D52F
	v_mul_f32_e32 v107, v47, v107                              // 0000000056B8: 0AD6D72F
	v_rcp_f32_e32 v47, v48                                     // 0000000056BC: 7E5E4530
	s_waitcnt lgkmcnt(0)                                       // 0000000056C0: BF8CC07F
	s_barrier                                                  // 0000000056C4: BF8A0000
	ds_read_b64 v[88:89], v12 offset:6272                      // 0000000056C8: D8EC1880 5800000C
	ds_read_b64 v[90:91], v12 offset:6400                      // 0000000056D0: D8EC1900 5A00000C
	ds_read_b64 v[92:93], v12 offset:7296                      // 0000000056D8: D8EC1C80 5C00000C
	ds_read_b64 v[94:95], v12 offset:7424                      // 0000000056E0: D8EC1D00 5E00000C
	v_add_f32_e32 v112, v112, v104                             // 0000000056E8: 02E0D170
	v_add_f32_e32 v113, v113, v105                             // 0000000056EC: 02E2D371
	v_add_f32_e32 v114, v114, v106                             // 0000000056F0: 02E4D572
	v_add_f32_e32 v115, v115, v107                             // 0000000056F4: 02E6D773
	s_waitcnt lgkmcnt(3)                                       // 0000000056F8: BF8CC37F
	v_mov_b32_dpp v96, v88 row_shl:8 row_mask:0xf bank_mask:0xf bound_ctrl:1// 0000000056FC: 7EC002FA FF090858
	v_and_b32_e32 v88, v88, v9                                 // 000000005704: 26B01358
	v_mov_b32_dpp v97, v89 row_shl:8 row_mask:0xf bank_mask:0xf bound_ctrl:1// 000000005708: 7EC202FA FF090859
	v_and_b32_e32 v89, v89, v9                                 // 000000005710: 26B21359
	s_waitcnt lgkmcnt(2)                                       // 000000005714: BF8CC27F
	v_mov_b32_dpp v98, v90 row_shl:8 row_mask:0xf bank_mask:0xf bound_ctrl:1// 000000005718: 7EC402FA FF09085A
	v_and_b32_e32 v90, v90, v9                                 // 000000005720: 26B4135A
	v_mov_b32_dpp v99, v91 row_shl:8 row_mask:0xf bank_mask:0xf bound_ctrl:1// 000000005724: 7EC602FA FF09085B
	v_and_b32_e32 v91, v91, v9                                 // 00000000572C: 26B6135B
	s_waitcnt lgkmcnt(1)                                       // 000000005730: BF8CC17F
	v_mov_b32_dpp v100, v92 row_shl:8 row_mask:0xf bank_mask:0xf bound_ctrl:1// 000000005734: 7EC802FA FF09085C
	v_and_b32_e32 v92, v92, v9                                 // 00000000573C: 26B8135C
	v_mov_b32_dpp v101, v93 row_shl:8 row_mask:0xf bank_mask:0xf bound_ctrl:1// 000000005740: 7ECA02FA FF09085D
	v_and_b32_e32 v93, v93, v9                                 // 000000005748: 26BA135D
	s_waitcnt lgkmcnt(0)                                       // 00000000574C: BF8CC07F
	v_mov_b32_dpp v102, v94 row_shl:8 row_mask:0xf bank_mask:0xf bound_ctrl:1// 000000005750: 7ECC02FA FF09085E
	v_and_b32_e32 v94, v94, v9                                 // 000000005758: 26BC135E
	v_mov_b32_dpp v103, v95 row_shl:8 row_mask:0xf bank_mask:0xf bound_ctrl:1// 00000000575C: 7ECE02FA FF09085F
	v_and_b32_e32 v95, v95, v9                                 // 000000005764: 26BE135F
	s_waitcnt vmcnt(0)                                         // 000000005768: BF8C0F70
	s_barrier                                                  // 00000000576C: BF8A0000
	v_mfma_i32_16x16x32_i8 v[104:107], a[96:97], v[88:89], 0   // 000000005770: D3D70068 0A02B160
	v_mfma_i32_16x16x32_i8 v[104:107], a[98:99], v[90:91], v[104:107]// 000000005778: D3D70068 0DA2B562
	v_mfma_i32_16x16x32_i8 v[104:107], a[100:101], v[92:93], v[104:107]// 000000005780: D3D70068 0DA2B964
	v_mfma_i32_16x16x32_i8 v[104:107], a[102:103], v[94:95], v[104:107]// 000000005788: D3D70068 0DA2BD66
	v_mfma_i32_16x16x32_i8 v[104:107], a[104:105], v[96:97], v[104:107]// 000000005790: D3D70068 0DA2C168
	v_mfma_i32_16x16x32_i8 v[104:107], a[106:107], v[98:99], v[104:107]// 000000005798: D3D70068 0DA2C56A
	v_mfma_i32_16x16x32_i8 v[104:107], a[108:109], v[100:101], v[104:107]// 0000000057A0: D3D70068 0DA2C96C
	v_mfma_i32_16x16x32_i8 v[104:107], a[110:111], v[102:103], v[104:107]// 0000000057A8: D3D70068 0DA2CD6E
	v_mfma_i32_16x16x32_i8 v[108:111], a[112:113], v[88:89], 0 // 0000000057B0: D3D7006C 0A02B170
	v_mfma_i32_16x16x32_i8 v[108:111], a[114:115], v[90:91], v[108:111]// 0000000057B8: D3D7006C 0DB2B572
	v_mfma_i32_16x16x32_i8 v[108:111], a[116:117], v[92:93], v[108:111]// 0000000057C0: D3D7006C 0DB2B974
	v_mfma_i32_16x16x32_i8 v[108:111], a[118:119], v[94:95], v[108:111]// 0000000057C8: D3D7006C 0DB2BD76
	v_mfma_i32_16x16x32_i8 v[108:111], a[120:121], v[96:97], v[108:111]// 0000000057D0: D3D7006C 0DB2C178
	v_mfma_i32_16x16x32_i8 v[108:111], a[122:123], v[98:99], v[108:111]// 0000000057D8: D3D7006C 0DB2C57A
	v_mfma_i32_16x16x32_i8 v[108:111], a[124:125], v[100:101], v[108:111]// 0000000057E0: D3D7006C 0DB2C97C
	v_mfma_i32_16x16x32_i8 v[108:111], a[126:127], v[102:103], v[108:111]// 0000000057E8: D3D7006C 0DB2CD7E
	s_nop 4                                                    // 0000000057F0: BF800004
	s_branch label_0DBE                                        // 0000000057F4: BF820000

00000000000057f8 <label_0DBE>:
	v_mul_f32_e32 v112, v49, v112                              // 0000000057F8: 0AE0E131
	v_mul_f32_e32 v113, v49, v113                              // 0000000057FC: 0AE2E331
	v_mul_f32_e32 v114, v49, v114                              // 000000005800: 0AE4E531
	v_mul_f32_e32 v115, v49, v115                              // 000000005804: 0AE6E731
	v_or_b32_dpp v104, v108, v104 row_shr:8 row_mask:0xf bank_mask:0xf bound_ctrl:1// 000000005808: 28D0D0FA FF09186C
	v_or_b32_dpp v105, v109, v105 row_shr:8 row_mask:0xf bank_mask:0xf bound_ctrl:1// 000000005810: 28D2D2FA FF09186D
	v_or_b32_dpp v106, v110, v106 row_shr:8 row_mask:0xf bank_mask:0xf bound_ctrl:1// 000000005818: 28D4D4FA FF09186E
	v_or_b32_dpp v107, v111, v107 row_shr:8 row_mask:0xf bank_mask:0xf bound_ctrl:1// 000000005820: 28D6D6FA FF09186F
	v_cvt_f32_i32_e32 v104, v104                               // 000000005828: 7ED00B68
	v_cvt_f32_i32_e32 v105, v105                               // 00000000582C: 7ED20B69
	v_cvt_f32_i32_e32 v106, v106                               // 000000005830: 7ED40B6A
	v_cvt_f32_i32_e32 v107, v107                               // 000000005834: 7ED60B6B
	v_mul_f32_e32 v104, v47, v104                              // 000000005838: 0AD0D12F
	v_mul_f32_e32 v105, v47, v105                              // 00000000583C: 0AD2D32F
	v_mul_f32_e32 v106, v47, v106                              // 000000005840: 0AD4D52F
	v_mul_f32_e32 v107, v47, v107                              // 000000005844: 0AD6D72F
	v_add_f32_e32 v112, v112, v104                             // 000000005848: 02E0D170
	v_add_f32_e32 v113, v113, v105                             // 00000000584C: 02E2D371
	v_add_f32_e32 v114, v114, v106                             // 000000005850: 02E4D572
	v_add_f32_e32 v115, v115, v107                             // 000000005854: 02E6D773
	ds_write_b32 v11, v42 offset:4224                          // 000000005858: D81A1080 00002A0B
	s_waitcnt lgkmcnt(0)                                       // 000000005860: BF8CC07F
	s_barrier                                                  // 000000005864: BF8A0000
	ds_read_b32 v64, v10 offset:4224                           // 000000005868: D86C1080 4000000A
	ds_read_b32 v65, v10 offset:4288                           // 000000005870: D86C10C0 4100000A
	ds_read_b32 v66, v10 offset:4352                           // 000000005878: D86C1100 4200000A
	ds_read_b32 v67, v10 offset:4416                           // 000000005880: D86C1140 4300000A
	ds_read_b32 v68, v10 offset:4480                           // 000000005888: D86C1180 4400000A
	ds_read_b32 v69, v10 offset:4544                           // 000000005890: D86C11C0 4500000A
	ds_read_b32 v70, v10 offset:4608                           // 000000005898: D86C1200 4600000A
	ds_read_b32 v71, v10 offset:4672                           // 0000000058A0: D86C1240 4700000A
	ds_read_b32 v72, v10 offset:4736                           // 0000000058A8: D86C1280 4800000A
	ds_read_b32 v73, v10 offset:4800                           // 0000000058B0: D86C12C0 4900000A
	ds_read_b32 v74, v10 offset:4864                           // 0000000058B8: D86C1300 4A00000A
	ds_read_b32 v75, v10 offset:4928                           // 0000000058C0: D86C1340 4B00000A
	ds_read_b32 v76, v10 offset:4992                           // 0000000058C8: D86C1380 4C00000A
	ds_read_b32 v77, v10 offset:5056                           // 0000000058D0: D86C13C0 4D00000A
	ds_read_b32 v78, v10 offset:5120                           // 0000000058D8: D86C1400 4E00000A
	ds_read_b32 v79, v10 offset:5184                           // 0000000058E0: D86C1440 4F00000A
	s_waitcnt lgkmcnt(0)                                       // 0000000058E8: BF8CC07F
	v_mov_b32_e32 v42, 0                                       // 0000000058EC: 7E540280
	v_add_f32_e32 v42, v64, v42                                // 0000000058F0: 02545540
	v_add_f32_e32 v42, v65, v42                                // 0000000058F4: 02545541
	v_add_f32_e32 v42, v66, v42                                // 0000000058F8: 02545542
	v_add_f32_e32 v42, v67, v42                                // 0000000058FC: 02545543
	v_add_f32_e32 v42, v68, v42                                // 000000005900: 02545544
	v_add_f32_e32 v42, v69, v42                                // 000000005904: 02545545
	;; [unrolled: 1-line block ×3, first 2 shown]
	v_add_f32_e32 v42, v71, v42                                // 00000000590C: 02545547
	v_add_f32_e32 v42, v72, v42                                // 000000005910: 02545548
	v_add_f32_e32 v42, v73, v42                                // 000000005914: 02545549
	v_add_f32_e32 v42, v74, v42                                // 000000005918: 0254554A
	v_add_f32_e32 v42, v75, v42                                // 00000000591C: 0254554B
	v_add_f32_e32 v42, v76, v42                                // 000000005920: 0254554C
	v_add_f32_e32 v42, v77, v42                                // 000000005924: 0254554D
	v_add_f32_e32 v42, v78, v42                                // 000000005928: 0254554E
	v_add_f32_e32 v42, v79, v42                                // 00000000592C: 0254554F
	s_nop 1                                                    // 000000005930: BF800001
	v_mov_b32_dpp v38, v42 row_ror:8 row_mask:0xf bank_mask:0xf// 000000005934: 7E4C02FA FF01282A
	v_add_f32_e32 v42, v42, v38                                // 00000000593C: 02544D2A
	v_rcp_f32_e32 v42, v42                                     // 000000005940: 7E54452A
	s_nop 1                                                    // 000000005944: BF800001
	v_mul_f32_e32 v112, v42, v112                              // 000000005948: 0AE0E12A
	v_mul_f32_e32 v113, v42, v113                              // 00000000594C: 0AE2E32A
	v_mul_f32_e32 v114, v42, v114                              // 000000005950: 0AE4E52A
	v_mul_f32_e32 v115, v42, v115                              // 000000005954: 0AE6E72A
	v_cmp_u_f32_e64 s[40:41], v112, v112                       // 000000005958: D0480028 0002E170
	v_add3_u32 v18, v112, v21, 1                               // 000000005960: D1FF0012 02062B70
	v_cndmask_b32_e64 v38, v18, v20, s[40:41]                  // 000000005968: D1000026 00A22912
	v_cmp_u_f32_e64 s[40:41], v113, v113                       // 000000005970: D0480028 0002E371
	v_add3_u32 v18, v113, v21, 1                               // 000000005978: D1FF0012 02062B71
	v_cndmask_b32_e64 v39, v18, v20, s[40:41]                  // 000000005980: D1000027 00A22912
	v_perm_b32 v112, v39, v38, s52                             // 000000005988: D1ED0070 00D24D27
	v_cmp_u_f32_e64 s[40:41], v114, v114                       // 000000005990: D0480028 0002E572
	v_add3_u32 v18, v114, v21, 1                               // 000000005998: D1FF0012 02062B72
	v_cndmask_b32_e64 v38, v18, v20, s[40:41]                  // 0000000059A0: D1000026 00A22912
	v_cmp_u_f32_e64 s[40:41], v115, v115                       // 0000000059A8: D0480028 0002E773
	v_add3_u32 v18, v115, v21, 1                               // 0000000059B0: D1FF0012 02062B73
	v_cndmask_b32_e64 v39, v18, v20, s[40:41]                  // 0000000059B8: D1000027 00A22912
	v_perm_b32 v113, v39, v38, s52                             // 0000000059C0: D1ED0071 00D24D27
	s_nop 1                                                    // 0000000059C8: BF800001
	v_mov_b32_dpp v114, v112 row_shl:8 row_mask:0xf bank_mask:0xf bound_ctrl:1// 0000000059CC: 7EE402FA FF090870
	v_and_b32_e32 v112, v112, v9                               // 0000000059D4: 26E01370
	v_mov_b32_dpp v115, v113 row_shl:8 row_mask:0xf bank_mask:0xf bound_ctrl:1// 0000000059D8: 7EE602FA FF090871
	v_and_b32_e32 v113, v113, v9                               // 0000000059E0: 26E21371
	v_lshrrev_b32_e32 v38, 4, v0                               // 0000000059E4: 204C0084
	v_mul_i32_i24_e32 v5, 34, v38                              // 0000000059E8: 0C0A4CA2
	v_and_b32_e32 v38, 15, v0                                  // 0000000059EC: 264C008F
	v_mul_i32_i24_e32 v39, 2, v38                              // 0000000059F0: 0C4E4C82
	v_add_u32_e32 v5, v39, v5                                  // 0000000059F4: 680A0B27
	s_mul_i32 s60, s7, 0x88                                    // 0000000059F8: 923CFF07 00000088
	v_add_u32_e32 v5, s60, v5                                  // 000000005A00: 680A0A3C
	v_lshlrev_b32_e32 v5, 2, v5                                // 000000005A04: 240A0A82
	ds_write_b64 v5, v[112:113] offset:10368                   // 000000005A08: D89A2880 00007005
	ds_write_b64 v5, v[114:115] offset:12544                   // 000000005A10: D89A3100 00007205
	v_lshrrev_b32_e32 v38, 1, v0                               // 000000005A18: 204C0081
	v_mul_i32_i24_e32 v5, 34, v38                              // 000000005A1C: 0C0A4CA2
	v_and_b32_e32 v39, 1, v0                                   // 000000005A20: 264E0081
	v_add_u32_e32 v5, v39, v5                                  // 000000005A24: 680A0B27
	s_mul_i32 s60, s7, 2                                       // 000000005A28: 923C8207
	v_add_u32_e32 v5, s60, v5                                  // 000000005A2C: 680A0A3C
	v_lshlrev_b32_e32 v5, 2, v5                                // 000000005A30: 240A0A82
	s_waitcnt lgkmcnt(0)                                       // 000000005A34: BF8CC07F
	s_barrier                                                  // 000000005A38: BF8A0000
	ds_read_b32 v112, v5 offset:10368                          // 000000005A3C: D86C2880 70000005
	ds_read_b32 v113, v5 offset:10400                          // 000000005A44: D86C28A0 71000005
	s_waitcnt lgkmcnt(0)                                       // 000000005A4C: BF8CC07F
	buffer_store_dword v112, v8, s[8:11], 0 offen              // 000000005A50: E0701000 80027008
	buffer_store_dword v113, v8, s[8:11], 0 offen offset:1024  // 000000005A58: E0701400 80027108
	s_waitcnt vmcnt(0) expcnt(0) lgkmcnt(0)                    // 000000005A60: BF8C0000
	s_endpgm                                                   // 000000005A64: BF810000
